;; amdgpu-corpus repo=ROCm/rocFFT kind=compiled arch=gfx950 opt=O3
	.text
	.amdgcn_target "amdgcn-amd-amdhsa--gfx950"
	.amdhsa_code_object_version 6
	.protected	bluestein_single_back_len3645_dim1_sp_op_CI_CI ; -- Begin function bluestein_single_back_len3645_dim1_sp_op_CI_CI
	.globl	bluestein_single_back_len3645_dim1_sp_op_CI_CI
	.p2align	8
	.type	bluestein_single_back_len3645_dim1_sp_op_CI_CI,@function
bluestein_single_back_len3645_dim1_sp_op_CI_CI: ; @bluestein_single_back_len3645_dim1_sp_op_CI_CI
; %bb.0:
	s_load_dwordx4 s[4:7], s[0:1], 0x28
	v_mul_u32_u24_e32 v1, 0x10e, v0
	v_add_u32_sdwa v176, s2, v1 dst_sel:DWORD dst_unused:UNUSED_PAD src0_sel:DWORD src1_sel:WORD_1
	v_mov_b32_e32 v177, 0
	s_waitcnt lgkmcnt(0)
	v_cmp_gt_u64_e32 vcc, s[4:5], v[176:177]
	s_and_saveexec_b64 s[2:3], vcc
	s_cbranch_execz .LBB0_2
; %bb.1:
	s_load_dwordx4 s[12:15], s[0:1], 0x18
	s_load_dwordx4 s[8:11], s[0:1], 0x0
	v_mov_b32_e32 v2, s6
	v_mov_b32_e32 v3, s7
	s_movk_i32 s2, 0xf3
	s_waitcnt lgkmcnt(0)
	s_load_dwordx4 s[4:7], s[14:15], 0x0
	v_mul_lo_u16_sdwa v1, v1, s2 dst_sel:DWORD dst_unused:UNUSED_PAD src0_sel:WORD_1 src1_sel:DWORD
	s_load_dwordx4 s[12:15], s[12:13], 0x0
	v_sub_u16_e32 v134, v0, v1
	v_mov_b32_e32 v183, 0xffffac78
	s_waitcnt lgkmcnt(0)
	v_mad_u64_u32 v[4:5], s[2:3], s6, v176, 0
	v_mov_b32_e32 v0, v5
	v_mad_u64_u32 v[154:155], s[2:3], s7, v176, v[0:1]
	v_mad_u64_u32 v[0:1], s[2:3], s14, v176, 0
	v_accvgpr_write_b32 a0, v4
	v_mov_b32_e32 v4, v1
	v_mad_u64_u32 v[4:5], s[2:3], s15, v176, v[4:5]
	v_mov_b32_e32 v1, v4
	v_mad_u64_u32 v[4:5], s[2:3], s12, v134, 0
	;; [unrolled: 2-line block ×3, first 2 shown]
	v_mov_b32_e32 v5, v6
	v_lshl_add_u64 v[0:1], v[0:1], 3, v[2:3]
	v_lshl_add_u64 v[2:3], v[4:5], 3, v[0:1]
	v_mov_b32_e32 v155, 0x16c8
	global_load_dwordx2 v[0:1], v[2:3], off
	v_lshlrev_b32_e32 v176, 3, v134
	v_mad_u64_u32 v[2:3], s[2:3], s12, v155, v[2:3]
	v_lshl_add_u64 v[158:159], s[8:9], 0, v[176:177]
	s_mul_i32 s2, s13, 0x16c8
	s_movk_i32 s7, 0x1000
	v_add_u32_e32 v3, s2, v3
	v_add_co_u32_e32 v4, vcc, s7, v158
	v_mad_u64_u32 v[6:7], s[14:15], s12, v155, v[2:3]
	s_nop 0
	v_addc_co_u32_e32 v5, vcc, 0, v159, vcc
	s_movk_i32 s3, 0x2000
	v_add_u32_e32 v7, s2, v7
	v_add_co_u32_e32 v8, vcc, s3, v158
	v_mad_u64_u32 v[10:11], s[14:15], s12, v155, v[6:7]
	s_nop 0
	v_addc_co_u32_e32 v9, vcc, 0, v159, vcc
	s_movk_i32 s6, 0x4000
	v_add_u32_e32 v11, s2, v11
	v_add_co_u32_e32 v12, vcc, s6, v158
	v_mad_u64_u32 v[14:15], s[14:15], s12, v155, v[10:11]
	s_nop 0
	v_addc_co_u32_e32 v13, vcc, 0, v159, vcc
	s_movk_i32 s6, 0x5000
	global_load_dwordx2 v[156:157], v176, s[8:9]
	global_load_dwordx2 v[152:153], v[4:5], off offset:1736
	global_load_dwordx2 v[148:149], v[8:9], off offset:3472
	;; [unrolled: 1-line block ×3, first 2 shown]
	v_add_u32_e32 v15, s2, v15
	global_load_dwordx2 v[16:17], v[2:3], off
	global_load_dwordx2 v[18:19], v[6:7], off
	;; [unrolled: 1-line block ×4, first 2 shown]
	v_add_co_u32_e32 v2, vcc, s6, v158
	s_mul_i32 s6, s13, 0xffffac78
	v_mad_u64_u32 v[6:7], s[14:15], s12, v183, v[14:15]
	s_sub_i32 s6, s6, s12
	v_addc_co_u32_e32 v3, vcc, 0, v159, vcc
	v_add_u32_e32 v7, s6, v7
	global_load_dwordx2 v[144:145], v[2:3], off offset:2848
	global_load_dwordx2 v[10:11], v[6:7], off
	global_load_dwordx2 v[146:147], v176, s[8:9] offset:1944
	v_mad_u64_u32 v[6:7], s[14:15], s12, v155, v[6:7]
	v_add_u32_e32 v7, s2, v7
	global_load_dwordx2 v[14:15], v[6:7], off
	global_load_dwordx2 v[136:137], v[4:5], off offset:3680
	v_mad_u64_u32 v[4:5], s[14:15], s12, v155, v[6:7]
	v_add_u32_e32 v5, s2, v5
	s_movk_i32 s13, 0x3000
	global_load_dwordx2 v[6:7], v[4:5], off
	v_add_co_u32_e32 v24, vcc, s13, v158
	v_mad_u64_u32 v[4:5], s[14:15], s12, v155, v[4:5]
	s_nop 0
	v_addc_co_u32_e32 v25, vcc, 0, v159, vcc
	v_add_u32_e32 v5, s2, v5
	global_load_dwordx2 v[138:139], v[24:25], off offset:1320
	global_load_dwordx2 v[26:27], v[4:5], off
	global_load_dwordx2 v[128:129], v[12:13], off offset:3056
	v_mad_u64_u32 v[4:5], s[14:15], s12, v155, v[4:5]
	s_movk_i32 s13, 0x6000
	v_add_u32_e32 v5, s2, v5
	v_add_co_u32_e32 v28, vcc, s13, v158
	global_load_dwordx2 v[12:13], v[4:5], off
	s_nop 0
	v_addc_co_u32_e32 v29, vcc, 0, v159, vcc
	v_mad_u64_u32 v[4:5], s[14:15], s12, v183, v[4:5]
	global_load_dwordx2 v[130:131], v[28:29], off offset:696
	v_add_u32_e32 v5, s6, v5
	global_load_dwordx2 v[30:31], v[4:5], off
	global_load_dwordx2 v[126:127], v176, s[8:9] offset:3888
	v_mad_u64_u32 v[4:5], s[8:9], s12, v155, v[4:5]
	v_add_u32_e32 v5, s2, v5
	global_load_dwordx2 v[32:33], v[4:5], off
	global_load_dwordx2 v[160:161], v[8:9], off offset:1528
	v_mad_u64_u32 v[4:5], s[8:9], s12, v155, v[4:5]
	v_add_u32_e32 v5, s2, v5
	global_load_dwordx2 v[8:9], v[4:5], off
	global_load_dwordx2 v[132:133], v[28:29], off offset:2640
	global_load_dwordx2 v[150:151], v[24:25], off offset:3264
	v_mad_u64_u32 v[4:5], s[8:9], s12, v155, v[4:5]
	v_add_u32_e32 v5, s2, v5
	global_load_dwordx2 v[24:25], v[4:5], off
	global_load_dwordx2 v[140:141], v[2:3], off offset:904
	v_mad_u64_u32 v[2:3], s[8:9], s12, v155, v[4:5]
	v_add_u32_e32 v3, s2, v3
	global_load_dwordx2 v[2:3], v[2:3], off
	v_add_u32_e32 v165, 0x1e00, v176
	v_add_u32_e32 v120, 0x3500, v176
	;; [unrolled: 1-line block ×8, first 2 shown]
	s_mov_b32 s6, 0x3f737871
	s_mov_b32 s12, 0x3f167918
	;; [unrolled: 1-line block ×4, first 2 shown]
	v_mov_b32_e32 v135, s2
	s_mov_b64 s[14:15], 0x2d9
	v_lshl_add_u64 v[108:109], v[134:135], 0, s[14:15]
	s_waitcnt vmcnt(28)
	v_mul_f32_e32 v4, v1, v157
	v_fmac_f32_e32 v4, v0, v156
	v_mul_f32_e32 v0, v0, v157
	v_fma_f32 v5, v1, v156, -v0
	s_waitcnt vmcnt(24)
	v_mul_f32_e32 v0, v17, v153
	v_mul_f32_e32 v1, v16, v153
	v_fmac_f32_e32 v0, v16, v152
	v_fma_f32 v1, v17, v152, -v1
	ds_write_b64 v176, v[0:1] offset:5832
	s_waitcnt vmcnt(23)
	v_mul_f32_e32 v0, v19, v149
	v_mul_f32_e32 v1, v18, v149
	v_fmac_f32_e32 v0, v18, v148
	v_fma_f32 v1, v19, v148, -v1
	ds_write_b64 v176, v[0:1] offset:11664
	;; [unrolled: 6-line block ×4, first 2 shown]
	s_waitcnt vmcnt(18)
	v_mul_f32_e32 v0, v11, v147
	v_mul_f32_e32 v1, v10, v147
	v_fmac_f32_e32 v0, v10, v146
	v_fma_f32 v1, v11, v146, -v1
	ds_write2_b64 v176, v[4:5], v[0:1] offset1:243
	s_waitcnt vmcnt(16)
	v_mul_f32_e32 v0, v15, v137
	v_mul_f32_e32 v1, v14, v137
	v_fmac_f32_e32 v0, v14, v136
	v_fma_f32 v1, v15, v136, -v1
	s_waitcnt vmcnt(14)
	v_mul_f32_e32 v4, v7, v139
	v_mul_f32_e32 v5, v6, v139
	v_fmac_f32_e32 v4, v6, v138
	v_fma_f32 v5, v7, v138, -v5
	;; [unrolled: 5-line block ×3, first 2 shown]
	s_mov_b64 s[14:15], 0xf3
	v_lshl_add_u64 v[92:93], v[134:135], 0, s[14:15]
	s_mov_b64 s[16:17], 0x1e6
	v_lshl_add_u64 v[110:111], v[134:135], 0, s[16:17]
	s_mov_b64 s[14:15], 0x3cc
	s_waitcnt vmcnt(10)
	v_mul_f32_e32 v10, v13, v131
	v_mul_f32_e32 v11, v12, v131
	v_fmac_f32_e32 v10, v12, v130
	v_fma_f32 v11, v13, v130, -v11
	s_waitcnt vmcnt(8)
	v_mul_f32_e32 v12, v31, v127
	v_mul_f32_e32 v13, v30, v127
	v_fmac_f32_e32 v12, v30, v126
	v_fma_f32 v13, v31, v126, -v13
	ds_write_b64 v176, v[12:13] offset:3888
	s_waitcnt vmcnt(6)
	v_mul_f32_e32 v12, v33, v161
	v_mul_f32_e32 v13, v32, v161
	v_fmac_f32_e32 v12, v32, v160
	v_fma_f32 v13, v33, v160, -v13
	ds_write2_b64 v165, v[0:1], v[12:13] offset0:12 offset1:255
	s_waitcnt vmcnt(3)
	v_mul_f32_e32 v0, v9, v151
	v_mul_f32_e32 v1, v8, v151
	v_fmac_f32_e32 v0, v8, v150
	v_fma_f32 v1, v9, v150, -v1
	ds_write2_b64 v120, v[4:5], v[0:1] offset0:5 offset1:248
	s_waitcnt vmcnt(1)
	v_mul_f32_e32 v0, v25, v141
	v_mul_f32_e32 v1, v24, v141
	v_fmac_f32_e32 v0, v24, v140
	v_fma_f32 v1, v25, v140, -v1
	ds_write2_b64 v163, v[6:7], v[0:1] offset0:6 offset1:249
	s_waitcnt vmcnt(0)
	v_mul_f32_e32 v0, v3, v133
	v_mul_f32_e32 v1, v2, v133
	v_fmac_f32_e32 v0, v2, v132
	v_fma_f32 v1, v3, v132, -v1
	ds_write2_b64 v179, v[10:11], v[0:1] offset0:7 offset1:250
	v_mul_lo_u16_e32 v0, 5, v134
	s_waitcnt lgkmcnt(0)
	s_barrier
	v_lshlrev_b32_e32 v185, 3, v0
	ds_read2_b64 v[0:3], v176 offset1:243
	ds_read2_b64 v[4:7], v165 offset0:12 offset1:255
	ds_read2_b64 v[8:11], v169 offset0:2 offset1:245
	;; [unrolled: 1-line block ×6, first 2 shown]
	ds_read_b64 v[40:41], v176 offset:27216
	s_waitcnt lgkmcnt(0)
	s_barrier
	v_pk_add_f32 v[28:29], v[8:9], v[22:23]
	v_pk_add_f32 v[30:31], v[26:27], v[16:17] neg_lo:[0,1] neg_hi:[0,1]
	v_pk_fma_f32 v[28:29], v[28:29], 0.5, v[0:1] op_sel_hi:[1,0,1] neg_lo:[1,0,0] neg_hi:[1,0,0]
	v_pk_mul_f32 v[32:33], v[30:31], s[6:7] op_sel_hi:[1,0]
	v_pk_add_f32 v[34:35], v[8:9], v[22:23] neg_lo:[0,1] neg_hi:[0,1]
	v_pk_add_f32 v[36:37], v[26:27], v[8:9] neg_lo:[0,1] neg_hi:[0,1]
	;; [unrolled: 1-line block ×3, first 2 shown]
	s_nop 0
	v_pk_add_f32 v[36:37], v[36:37], v[38:39]
	v_pk_add_f32 v[38:39], v[28:29], v[32:33] op_sel:[0,1] op_sel_hi:[1,0]
	v_pk_add_f32 v[28:29], v[28:29], v[32:33] op_sel:[0,1] op_sel_hi:[1,0] neg_lo:[0,1] neg_hi:[0,1]
	v_pk_mul_f32 v[32:33], v[34:35], s[12:13] op_sel_hi:[1,0]
	v_lshl_add_u64 v[116:117], v[134:135], 0, s[14:15]
	v_pk_add_f32 v[28:29], v[28:29], v[32:33] op_sel:[0,1] op_sel_hi:[1,0] neg_lo:[0,1] neg_hi:[0,1]
	v_pk_add_f32 v[32:33], v[38:39], v[32:33] op_sel:[0,1] op_sel_hi:[1,0]
	v_pk_add_f32 v[38:39], v[0:1], v[26:27]
	v_mov_b32_e32 v42, v32
	v_pk_add_f32 v[38:39], v[38:39], v[8:9]
	v_pk_add_f32 v[8:9], v[8:9], v[26:27] neg_lo:[0,1] neg_hi:[0,1]
	v_pk_add_f32 v[38:39], v[38:39], v[22:23]
	v_pk_add_f32 v[22:23], v[22:23], v[16:17] neg_lo:[0,1] neg_hi:[0,1]
	v_pk_add_f32 v[38:39], v[38:39], v[16:17]
	v_pk_add_f32 v[16:17], v[26:27], v[16:17]
	;; [unrolled: 1-line block ×3, first 2 shown]
	v_pk_fma_f32 v[0:1], v[16:17], 0.5, v[0:1] op_sel_hi:[1,0,1] neg_lo:[1,0,0] neg_hi:[1,0,0]
	v_pk_mul_f32 v[16:17], v[34:35], s[6:7] op_sel_hi:[1,0]
	v_mov_b32_e32 v43, v29
	v_pk_add_f32 v[22:23], v[0:1], v[16:17] op_sel:[0,1] op_sel_hi:[1,0] neg_lo:[0,1] neg_hi:[0,1]
	v_pk_add_f32 v[0:1], v[0:1], v[16:17] op_sel:[0,1] op_sel_hi:[1,0]
	v_pk_mul_f32 v[16:17], v[30:31], s[12:13] op_sel_hi:[1,0]
	v_mov_b32_e32 v29, v33
	v_pk_add_f32 v[0:1], v[0:1], v[16:17] op_sel:[0,1] op_sel_hi:[1,0] neg_lo:[0,1] neg_hi:[0,1]
	v_pk_add_f32 v[16:17], v[22:23], v[16:17] op_sel:[0,1] op_sel_hi:[1,0]
	v_mov_b32_e32 v23, v1
	v_mov_b32_e32 v22, v16
	;; [unrolled: 1-line block ×3, first 2 shown]
	v_pk_fma_f32 v[16:17], v[8:9], s[8:9], v[22:23] op_sel_hi:[1,0,1]
	v_pk_fma_f32 v[0:1], v[8:9], s[8:9], v[0:1] op_sel_hi:[1,0,1]
	ds_write2_b64 v185, v[16:17], v[0:1] offset0:2 offset1:3
	v_pk_add_f32 v[16:17], v[4:5], v[10:11] neg_lo:[0,1] neg_hi:[0,1]
	v_pk_add_f32 v[22:23], v[18:19], v[12:13] neg_lo:[0,1] neg_hi:[0,1]
	v_pk_add_f32 v[0:1], v[10:11], v[12:13]
	v_pk_add_f32 v[8:9], v[4:5], v[18:19]
	;; [unrolled: 1-line block ×3, first 2 shown]
	v_pk_add_f32 v[22:23], v[4:5], v[18:19] neg_lo:[0,1] neg_hi:[0,1]
	v_pk_fma_f32 v[0:1], v[0:1], 0.5, v[2:3] op_sel_hi:[1,0,1] neg_lo:[1,0,0] neg_hi:[1,0,0]
	v_pk_fma_f32 v[8:9], v[8:9], 0.5, v[2:3] op_sel_hi:[1,0,1] neg_lo:[1,0,0] neg_hi:[1,0,0]
	v_pk_add_f32 v[2:3], v[2:3], v[4:5]
	v_pk_mul_f32 v[26:27], v[22:23], s[6:7] op_sel_hi:[1,0]
	v_pk_add_f32 v[2:3], v[2:3], v[10:11]
	v_pk_add_f32 v[30:31], v[0:1], v[26:27] op_sel:[0,1] op_sel_hi:[1,0]
	v_pk_add_f32 v[0:1], v[0:1], v[26:27] op_sel:[0,1] op_sel_hi:[1,0] neg_lo:[0,1] neg_hi:[0,1]
	v_pk_add_f32 v[26:27], v[10:11], v[12:13] neg_lo:[0,1] neg_hi:[0,1]
	v_pk_add_f32 v[4:5], v[10:11], v[4:5] neg_lo:[0,1] neg_hi:[0,1]
	;; [unrolled: 1-line block ×3, first 2 shown]
	v_pk_add_f32 v[2:3], v[2:3], v[12:13]
	v_pk_add_f32 v[4:5], v[4:5], v[10:11]
	v_pk_mul_f32 v[10:11], v[26:27], s[6:7] op_sel_hi:[1,0]
	v_pk_mul_f32 v[34:35], v[26:27], s[12:13] op_sel_hi:[1,0]
	v_pk_add_f32 v[12:13], v[8:9], v[10:11] op_sel:[0,1] op_sel_hi:[1,0] neg_lo:[0,1] neg_hi:[0,1]
	v_pk_add_f32 v[8:9], v[8:9], v[10:11] op_sel:[0,1] op_sel_hi:[1,0]
	v_pk_mul_f32 v[10:11], v[22:23], s[12:13] op_sel_hi:[1,0]
	v_pk_add_f32 v[0:1], v[0:1], v[34:35] op_sel:[0,1] op_sel_hi:[1,0] neg_lo:[0,1] neg_hi:[0,1]
	v_pk_add_f32 v[8:9], v[8:9], v[10:11] op_sel:[0,1] op_sel_hi:[1,0] neg_lo:[0,1] neg_hi:[0,1]
	v_pk_add_f32 v[10:11], v[12:13], v[10:11] op_sel:[0,1] op_sel_hi:[1,0]
	v_mov_b32_e32 v13, v9
	v_mov_b32_e32 v12, v10
	v_pk_add_f32 v[30:31], v[30:31], v[34:35] op_sel:[0,1] op_sel_hi:[1,0]
	v_mov_b32_e32 v9, v11
	v_pk_fma_f32 v[10:11], v[4:5], s[8:9], v[12:13] op_sel_hi:[1,0,1]
	v_mul_u32_u24_e32 v12, 5, v92
	v_pk_fma_f32 v[4:5], v[4:5], s[8:9], v[8:9] op_sel_hi:[1,0,1]
	v_mov_b32_e32 v9, v1
	v_mov_b32_e32 v1, v31
	v_lshlrev_b32_e32 v181, 3, v12
	v_mul_u32_u24_e32 v12, 5, v110
	v_pk_fma_f32 v[42:43], v[36:37], s[8:9], v[42:43] op_sel_hi:[1,0,1]
	v_pk_add_f32 v[2:3], v[2:3], v[18:19]
	v_mov_b32_e32 v8, v30
	v_pk_fma_f32 v[0:1], v[16:17], s[8:9], v[0:1] op_sel_hi:[1,0,1]
	v_lshlrev_b32_e32 v175, 3, v12
	v_pk_fma_f32 v[12:13], v[36:37], s[8:9], v[28:29] op_sel_hi:[1,0,1]
	ds_write2_b64 v185, v[38:39], v[42:43] offset1:1
	v_pk_fma_f32 v[8:9], v[16:17], s[8:9], v[8:9] op_sel_hi:[1,0,1]
	ds_write_b64 v185, v[12:13] offset:32
	ds_write2_b64 v181, v[2:3], v[8:9] offset1:1
	ds_write2_b64 v181, v[10:11], v[4:5] offset0:2 offset1:3
	ds_write_b64 v181, v[0:1] offset:32
	v_pk_add_f32 v[0:1], v[20:21], v[14:15]
	v_pk_add_f32 v[2:3], v[6:7], v[40:41] neg_lo:[0,1] neg_hi:[0,1]
	v_pk_fma_f32 v[0:1], v[0:1], 0.5, v[24:25] op_sel_hi:[1,0,1] neg_lo:[1,0,0] neg_hi:[1,0,0]
	v_pk_mul_f32 v[4:5], v[2:3], s[6:7] op_sel_hi:[1,0]
	v_pk_add_f32 v[8:9], v[20:21], v[14:15] neg_lo:[0,1] neg_hi:[0,1]
	v_pk_add_f32 v[10:11], v[6:7], v[20:21] neg_lo:[0,1] neg_hi:[0,1]
	;; [unrolled: 1-line block ×3, first 2 shown]
	v_pk_add_f32 v[16:17], v[24:25], v[6:7]
	v_pk_add_f32 v[10:11], v[10:11], v[12:13]
	v_pk_add_f32 v[12:13], v[0:1], v[4:5] op_sel:[0,1] op_sel_hi:[1,0]
	v_pk_add_f32 v[0:1], v[0:1], v[4:5] op_sel:[0,1] op_sel_hi:[1,0] neg_lo:[0,1] neg_hi:[0,1]
	v_pk_mul_f32 v[4:5], v[8:9], s[12:13] op_sel_hi:[1,0]
	v_pk_add_f32 v[16:17], v[16:17], v[20:21]
	v_pk_add_f32 v[0:1], v[0:1], v[4:5] op_sel:[0,1] op_sel_hi:[1,0] neg_lo:[0,1] neg_hi:[0,1]
	v_pk_add_f32 v[4:5], v[12:13], v[4:5] op_sel:[0,1] op_sel_hi:[1,0]
	v_pk_add_f32 v[16:17], v[16:17], v[14:15]
	v_mov_b32_e32 v12, v4
	v_mov_b32_e32 v13, v1
	v_pk_add_f32 v[16:17], v[16:17], v[40:41]
	v_pk_fma_f32 v[12:13], v[10:11], s[8:9], v[12:13] op_sel_hi:[1,0,1]
	ds_write2_b64 v175, v[16:17], v[12:13] offset1:1
	v_pk_add_f32 v[12:13], v[6:7], v[40:41]
	v_pk_add_f32 v[6:7], v[20:21], v[6:7] neg_lo:[0,1] neg_hi:[0,1]
	v_pk_fma_f32 v[12:13], v[12:13], 0.5, v[24:25] op_sel_hi:[1,0,1] neg_lo:[1,0,0] neg_hi:[1,0,0]
	v_pk_add_f32 v[14:15], v[14:15], v[40:41] neg_lo:[0,1] neg_hi:[0,1]
	v_pk_mul_f32 v[8:9], v[8:9], s[6:7] op_sel_hi:[1,0]
	v_pk_add_f32 v[6:7], v[6:7], v[14:15]
	v_pk_mul_f32 v[2:3], v[2:3], s[12:13] op_sel_hi:[1,0]
	v_pk_add_f32 v[14:15], v[12:13], v[8:9] op_sel:[0,1] op_sel_hi:[1,0] neg_lo:[0,1] neg_hi:[0,1]
	v_pk_add_f32 v[8:9], v[12:13], v[8:9] op_sel:[0,1] op_sel_hi:[1,0]
	s_mov_b32 s2, 0xcccd
	v_pk_add_f32 v[8:9], v[8:9], v[2:3] op_sel:[0,1] op_sel_hi:[1,0] neg_lo:[0,1] neg_hi:[0,1]
	v_pk_add_f32 v[2:3], v[14:15], v[2:3] op_sel:[0,1] op_sel_hi:[1,0]
	v_mov_b32_e32 v13, v9
	v_mov_b32_e32 v12, v2
	;; [unrolled: 1-line block ×3, first 2 shown]
	v_pk_fma_f32 v[12:13], v[6:7], s[8:9], v[12:13] op_sel_hi:[1,0,1]
	v_pk_fma_f32 v[2:3], v[6:7], s[8:9], v[8:9] op_sel_hi:[1,0,1]
	ds_write2_b64 v175, v[12:13], v[2:3] offset0:2 offset1:3
	v_mul_u32_u24_sdwa v2, v116, s2 dst_sel:DWORD dst_unused:UNUSED_PAD src0_sel:WORD_0 src1_sel:DWORD
	v_lshrrev_b32_e32 v2, 18, v2
	v_mov_b32_e32 v1, v5
	v_mul_lo_u16_e32 v3, 5, v2
	v_pk_fma_f32 v[0:1], v[10:11], s[8:9], v[0:1] op_sel_hi:[1,0,1]
	v_sub_u16_e32 v3, v116, v3
	ds_write_b64 v175, v[0:1] offset:32
	v_mul_u32_u24_sdwa v0, v108, s2 dst_sel:DWORD dst_unused:UNUSED_PAD src0_sel:WORD_0 src1_sel:DWORD
	v_lshlrev_b16_e32 v4, 1, v3
	v_lshrrev_b32_e32 v0, 18, v0
	v_lshlrev_b32_e32 v4, 3, v4
	s_waitcnt lgkmcnt(0)
	s_barrier
	v_mul_lo_u16_e32 v1, 5, v0
	global_load_dwordx4 v[4:7], v4, s[10:11]
	v_sub_u16_e32 v1, v108, v1
	v_lshlrev_b16_e32 v8, 1, v1
	v_lshlrev_b32_e32 v8, 3, v8
	global_load_dwordx4 v[122:125], v8, s[10:11]
	v_mul_u32_u24_sdwa v8, v110, s2 dst_sel:DWORD dst_unused:UNUSED_PAD src0_sel:WORD_0 src1_sel:DWORD
	v_lshrrev_b32_e32 v66, 18, v8
	v_mul_lo_u16_e32 v8, 5, v66
	v_sub_u16_e32 v67, v110, v8
	v_lshlrev_b16_e32 v8, 1, v67
	v_lshlrev_b32_e32 v8, 3, v8
	global_load_dwordx4 v[8:11], v8, s[10:11]
	v_mul_u32_u24_sdwa v12, v92, s2 dst_sel:DWORD dst_unused:UNUSED_PAD src0_sel:WORD_0 src1_sel:DWORD
	v_lshrrev_b32_e32 v68, 18, v12
	v_mul_lo_u16_e32 v12, 5, v68
	v_sub_u16_e32 v69, v92, v12
	s_movk_i32 s2, 0xcd
	v_lshlrev_b16_e32 v12, 1, v69
	v_mul_lo_u16_sdwa v16, v134, s2 dst_sel:DWORD dst_unused:UNUSED_PAD src0_sel:BYTE_0 src1_sel:DWORD
	v_lshlrev_b32_e32 v12, 3, v12
	global_load_dwordx4 v[12:15], v12, s[10:11]
	v_lshrrev_b16_e32 v64, 10, v16
	v_mul_lo_u16_e32 v16, 5, v64
	v_sub_u16_e32 v16, v134, v16
	v_and_b32_e32 v65, 0xff, v16
	v_lshlrev_b32_e32 v16, 4, v65
	global_load_dwordx4 v[16:19], v16, s[10:11]
	ds_read2_b64 v[20:23], v171 offset0:8 offset1:251
	s_mov_b32 s2, 0x3f5db3d7
	v_mad_legacy_u16 v0, v0, 15, v1
	s_mov_b32 s9, 0x8889
	s_movk_i32 s13, 0x795d
	s_movk_i32 s14, 0xff79
	s_mov_b32 s15, -1
	s_load_dwordx2 s[0:1], s[0:1], 0x38
	s_waitcnt vmcnt(4) lgkmcnt(0)
	v_pk_mul_f32 v[24:25], v[22:23], v[4:5] op_sel:[0,1]
	s_nop 0
	v_pk_fma_f32 v[30:31], v[22:23], v[4:5], v[24:25] op_sel:[0,0,1] op_sel_hi:[1,1,0] neg_lo:[0,0,1] neg_hi:[0,0,1]
	v_pk_fma_f32 v[32:33], v[22:23], v[4:5], v[24:25] op_sel:[0,0,1] op_sel_hi:[1,0,0]
	ds_read2_b64 v[22:25], v167 offset0:4 offset1:247
	s_waitcnt vmcnt(3)
	v_pk_mul_f32 v[26:27], v[20:21], v[122:123] op_sel:[0,1]
	v_mov_b32_e32 v166, v125
	v_pk_fma_f32 v[34:35], v[20:21], v[122:123], v[26:27] op_sel:[0,0,1] op_sel_hi:[1,1,0] neg_lo:[0,0,1] neg_hi:[0,0,1]
	v_pk_fma_f32 v[36:37], v[20:21], v[122:123], v[26:27] op_sel:[0,0,1] op_sel_hi:[1,0,0]
	s_waitcnt lgkmcnt(0)
	v_pk_mul_f32 v[20:21], v[24:25], v[166:167] op_sel_hi:[1,0]
	v_mov_b32_e32 v35, v37
	v_pk_fma_f32 v[38:39], v[24:25], v[124:125], v[20:21] op_sel:[0,0,1] op_sel_hi:[1,1,0] neg_lo:[0,0,1] neg_hi:[0,0,1]
	v_pk_fma_f32 v[40:41], v[24:25], v[124:125], v[20:21] op_sel:[0,0,1] op_sel_hi:[1,0,0]
	ds_read2_b64 v[24:27], v169 offset0:2 offset1:245
	s_waitcnt vmcnt(2)
	v_mov_b32_e32 v164, v11
	v_pk_mul_f32 v[20:21], v[22:23], v[164:165] op_sel_hi:[1,0]
	v_mov_b32_e32 v39, v41
	v_pk_fma_f32 v[42:43], v[22:23], v[10:11], v[20:21] op_sel:[0,0,1] op_sel_hi:[1,1,0] neg_lo:[0,0,1] neg_hi:[0,0,1]
	v_pk_fma_f32 v[44:45], v[22:23], v[10:11], v[20:21] op_sel:[0,0,1] op_sel_hi:[1,0,0]
	s_waitcnt lgkmcnt(0)
	v_pk_mul_f32 v[20:21], v[26:27], v[8:9] op_sel:[0,1]
	v_mul_u32_u24_e32 v11, 15, v64
	v_pk_fma_f32 v[46:47], v[26:27], v[8:9], v[20:21] op_sel:[0,0,1] op_sel_hi:[1,1,0] neg_lo:[0,0,1] neg_hi:[0,0,1]
	v_pk_fma_f32 v[48:49], v[26:27], v[8:9], v[20:21] op_sel:[0,0,1] op_sel_hi:[1,0,0]
	ds_read2_b64 v[20:23], v163 offset0:6 offset1:249
	s_waitcnt vmcnt(1)
	v_pk_mul_f32 v[26:27], v[24:25], v[12:13] op_sel:[0,1]
	v_add_lshl_u32 v125, v11, v65, 3
	v_pk_fma_f32 v[50:51], v[24:25], v[12:13], v[26:27] op_sel:[0,0,1] op_sel_hi:[1,1,0] neg_lo:[0,0,1] neg_hi:[0,0,1]
	v_pk_fma_f32 v[52:53], v[24:25], v[12:13], v[26:27] op_sel:[0,0,1] op_sel_hi:[1,0,0]
	v_mov_b32_e32 v26, v15
	s_waitcnt lgkmcnt(0)
	v_pk_mul_f32 v[24:25], v[22:23], v[26:27] op_sel_hi:[1,0]
	s_waitcnt vmcnt(0)
	v_mov_b32_e32 v162, v19
	v_pk_fma_f32 v[54:55], v[22:23], v[14:15], v[24:25] op_sel:[0,0,1] op_sel_hi:[1,1,0] neg_lo:[0,0,1] neg_hi:[0,0,1]
	v_pk_fma_f32 v[56:57], v[22:23], v[14:15], v[24:25] op_sel:[0,0,1] op_sel_hi:[1,0,0]
	ds_read2_b64 v[22:25], v165 offset0:12 offset1:255
	v_pk_mul_f32 v[26:27], v[20:21], v[162:163] op_sel_hi:[1,0]
	v_mov_b32_e32 v51, v53
	v_pk_fma_f32 v[58:59], v[20:21], v[18:19], v[26:27] op_sel:[0,0,1] op_sel_hi:[1,1,0] neg_lo:[0,0,1] neg_hi:[0,0,1]
	v_pk_fma_f32 v[20:21], v[20:21], v[18:19], v[26:27] op_sel:[0,0,1] op_sel_hi:[1,0,0]
	ds_read2_b64 v[26:29], v176 offset1:243
	s_waitcnt lgkmcnt(1)
	v_pk_mul_f32 v[60:61], v[24:25], v[16:17] op_sel:[0,1]
	v_mov_b32_e32 v59, v21
	v_pk_fma_f32 v[62:63], v[24:25], v[16:17], v[60:61] op_sel:[0,0,1] op_sel_hi:[1,1,0] neg_lo:[0,0,1] neg_hi:[0,0,1]
	v_pk_fma_f32 v[24:25], v[24:25], v[16:17], v[60:61] op_sel:[0,0,1] op_sel_hi:[1,0,0]
	v_mov_b32_e32 v55, v57
	v_mov_b32_e32 v63, v25
	s_waitcnt lgkmcnt(0)
	v_pk_add_f32 v[20:21], v[26:27], v[62:63]
	v_pk_add_f32 v[24:25], v[62:63], v[58:59]
	;; [unrolled: 1-line block ×3, first 2 shown]
	v_pk_add_f32 v[58:59], v[62:63], v[58:59] neg_lo:[0,1] neg_hi:[0,1]
	v_pk_fma_f32 v[24:25], v[24:25], 0.5, v[26:27] op_sel_hi:[1,0,1] neg_lo:[1,0,0] neg_hi:[1,0,0]
	v_pk_mul_f32 v[26:27], v[58:59], s[2:3] op_sel_hi:[1,0]
	v_mad_legacy_u16 v11, v68, 15, v69
	v_pk_add_f32 v[58:59], v[24:25], v[26:27] op_sel:[0,1] op_sel_hi:[1,0]
	v_pk_add_f32 v[60:61], v[24:25], v[26:27] op_sel:[0,1] op_sel_hi:[1,0] neg_lo:[0,1] neg_hi:[0,1]
	v_mov_b32_e32 v64, v58
	v_mov_b32_e32 v65, v61
	ds_read_b64 v[62:63], v176 offset:27216
	ds_read2_b64 v[24:27], v173 offset0:6 offset1:249
	s_waitcnt lgkmcnt(0)
	s_barrier
	ds_write2_b64 v125, v[20:21], v[64:65] offset1:5
	v_pk_add_f32 v[20:21], v[50:51], v[54:55]
	v_mov_b32_e32 v61, v59
	v_pk_fma_f32 v[20:21], v[20:21], 0.5, v[28:29] op_sel_hi:[1,0,1] neg_lo:[1,0,0] neg_hi:[1,0,0]
	v_pk_add_f32 v[28:29], v[28:29], v[50:51]
	v_pk_add_f32 v[50:51], v[50:51], v[54:55] neg_lo:[0,1] neg_hi:[0,1]
	v_pk_add_f32 v[28:29], v[28:29], v[54:55]
	v_pk_mul_f32 v[50:51], v[50:51], s[2:3] op_sel_hi:[1,0]
	v_lshlrev_b32_e32 v11, 3, v11
	v_pk_add_f32 v[52:53], v[20:21], v[50:51] op_sel:[0,1] op_sel_hi:[1,0] neg_lo:[0,1] neg_hi:[0,1]
	v_pk_add_f32 v[20:21], v[20:21], v[50:51] op_sel:[0,1] op_sel_hi:[1,0]
	v_mov_b32_e32 v51, v53
	v_mov_b32_e32 v50, v20
	;; [unrolled: 1-line block ×4, first 2 shown]
	ds_write_b64 v125, v[60:61] offset:80
	ds_write2_b64 v11, v[28:29], v[50:51] offset1:5
	v_pk_add_f32 v[28:29], v[46:47], v[42:43]
	v_pk_add_f32 v[44:45], v[46:47], v[42:43] neg_lo:[0,1] neg_hi:[0,1]
	v_pk_fma_f32 v[28:29], v[28:29], 0.5, v[24:25] op_sel_hi:[1,0,1] neg_lo:[1,0,0] neg_hi:[1,0,0]
	v_pk_mul_f32 v[44:45], v[44:45], s[2:3] op_sel_hi:[1,0]
	v_accvgpr_write_b32 a2, v15
	v_pk_add_f32 v[48:49], v[28:29], v[44:45] op_sel:[0,1] op_sel_hi:[1,0] neg_lo:[0,1] neg_hi:[0,1]
	v_pk_add_f32 v[28:29], v[28:29], v[44:45] op_sel:[0,1] op_sel_hi:[1,0]
	v_mov_b32_e32 v53, v21
	v_pk_add_f32 v[20:21], v[24:25], v[46:47]
	v_mad_legacy_u16 v15, v66, 15, v67
	v_pk_add_f32 v[20:21], v[20:21], v[42:43]
	v_lshlrev_b32_e32 v15, 3, v15
	v_mov_b32_e32 v24, v28
	v_mov_b32_e32 v25, v49
	ds_write_b64 v11, v[52:53] offset:80
	ds_write2_b64 v15, v[20:21], v[24:25] offset1:5
	v_pk_add_f32 v[20:21], v[34:35], v[38:39]
	v_pk_add_f32 v[24:25], v[26:27], v[34:35]
	v_pk_fma_f32 v[20:21], v[20:21], 0.5, v[26:27] op_sel_hi:[1,0,1] neg_lo:[1,0,0] neg_hi:[1,0,0]
	v_pk_add_f32 v[26:27], v[34:35], v[38:39] neg_lo:[0,1] neg_hi:[0,1]
	v_mov_b32_e32 v49, v29
	v_pk_mul_f32 v[26:27], v[26:27], s[2:3] op_sel_hi:[1,0]
	v_pk_add_f32 v[24:25], v[24:25], v[38:39]
	v_pk_add_f32 v[34:35], v[20:21], v[26:27] op_sel:[0,1] op_sel_hi:[1,0] neg_lo:[0,1] neg_hi:[0,1]
	v_pk_add_f32 v[20:21], v[20:21], v[26:27] op_sel:[0,1] op_sel_hi:[1,0]
	v_lshlrev_b32_e32 v19, 3, v0
	v_mov_b32_e32 v26, v20
	v_mov_b32_e32 v27, v35
	;; [unrolled: 1-line block ×3, first 2 shown]
	ds_write_b64 v15, v[48:49] offset:80
	ds_write2_b64 v19, v[24:25], v[26:27] offset1:5
	v_pk_mul_f32 v[24:25], v[62:63], v[170:171] op_sel_hi:[1,0]
	v_mov_b32_e32 v31, v33
	v_pk_fma_f32 v[26:27], v[62:63], v[6:7], v[24:25] op_sel:[0,0,1] op_sel_hi:[1,1,0] neg_lo:[0,0,1] neg_hi:[0,0,1]
	v_pk_fma_f32 v[24:25], v[62:63], v[6:7], v[24:25] op_sel:[0,0,1] op_sel_hi:[1,0,0]
	v_mad_legacy_u16 v0, v2, 15, v3
	v_mov_b32_e32 v27, v25
	v_pk_add_f32 v[24:25], v[30:31], v[26:27]
	v_pk_add_f32 v[28:29], v[30:31], v[26:27] neg_lo:[0,1] neg_hi:[0,1]
	v_mul_u32_u24_sdwa v2, v116, s9 dst_sel:DWORD dst_unused:UNUSED_PAD src0_sel:WORD_0 src1_sel:DWORD
	v_pk_fma_f32 v[24:25], v[24:25], 0.5, v[22:23] op_sel_hi:[1,0,1] neg_lo:[1,0,0] neg_hi:[1,0,0]
	v_pk_mul_f32 v[28:29], v[28:29], s[2:3] op_sel_hi:[1,0]
	v_lshrrev_b32_e32 v2, 19, v2
	v_pk_add_f32 v[22:23], v[22:23], v[30:31]
	v_pk_add_f32 v[30:31], v[24:25], v[28:29] op_sel:[0,1] op_sel_hi:[1,0] neg_lo:[0,1] neg_hi:[0,1]
	v_pk_add_f32 v[24:25], v[24:25], v[28:29] op_sel:[0,1] op_sel_hi:[1,0]
	v_mul_lo_u16_e32 v3, 15, v2
	v_mul_u32_u24_sdwa v28, v110, s9 dst_sel:DWORD dst_unused:UNUSED_PAD src0_sel:WORD_0 src1_sel:DWORD
	v_mov_b32_e32 v35, v21
	v_pk_add_f32 v[20:21], v[22:23], v[26:27]
	v_lshlrev_b32_e32 v7, 3, v0
	v_mov_b32_e32 v22, v24
	v_mov_b32_e32 v23, v31
	v_sub_u16_e32 v3, v116, v3
	v_lshrrev_b32_e32 v86, 19, v28
	ds_write_b64 v19, v[34:35] offset:80
	ds_write2_b64 v7, v[20:21], v[22:23] offset1:5
	v_mul_u32_u24_sdwa v0, v108, s9 dst_sel:DWORD dst_unused:UNUSED_PAD src0_sel:WORD_0 src1_sel:DWORD
	v_lshlrev_b16_e32 v20, 4, v3
	v_mov_b32_e32 v21, v177
	v_mul_lo_u16_e32 v28, 15, v86
	v_mov_b32_e32 v31, v25
	v_lshrrev_b32_e32 v0, 19, v0
	v_lshl_add_u64 v[20:21], s[10:11], 0, v[20:21]
	v_sub_u16_e32 v87, v110, v28
	ds_write_b64 v7, v[30:31] offset:80
	s_waitcnt lgkmcnt(0)
	s_barrier
	v_mul_lo_u16_e32 v1, 15, v0
	global_load_dwordx4 v[24:27], v[20:21], off offset:80
	v_lshlrev_b16_e32 v28, 4, v87
	v_mov_b32_e32 v29, v177
	v_sub_u16_e32 v1, v108, v1
	v_lshl_add_u64 v[28:29], s[10:11], 0, v[28:29]
	global_load_dwordx4 v[28:31], v[28:29], off offset:80
	v_lshlrev_b16_e32 v20, 4, v1
	v_mov_b32_e32 v21, v177
	v_lshl_add_u64 v[20:21], s[10:11], 0, v[20:21]
	global_load_dwordx4 v[20:23], v[20:21], off offset:80
	v_mul_u32_u24_sdwa v32, v92, s9 dst_sel:DWORD dst_unused:UNUSED_PAD src0_sel:WORD_0 src1_sel:DWORD
	v_lshrrev_b32_e32 v88, 19, v32
	v_mul_lo_u16_e32 v32, 15, v88
	s_movk_i32 s9, 0x89
	v_sub_u16_e32 v89, v92, v32
	v_mul_lo_u16_sdwa v36, v134, s9 dst_sel:DWORD dst_unused:UNUSED_PAD src0_sel:BYTE_0 src1_sel:DWORD
	v_lshlrev_b16_e32 v32, 4, v89
	v_mov_b32_e32 v33, v177
	v_lshrrev_b16_e32 v84, 11, v36
	v_lshl_add_u64 v[32:33], s[10:11], 0, v[32:33]
	global_load_dwordx4 v[32:35], v[32:33], off offset:80
	v_mul_lo_u16_e32 v36, 15, v84
	v_sub_u16_e32 v36, v134, v36
	v_and_b32_e32 v85, 0xff, v36
	v_lshlrev_b32_e32 v36, 4, v85
	global_load_dwordx4 v[36:39], v36, s[10:11] offset:80
	ds_read2_b64 v[40:43], v171 offset0:8 offset1:251
	v_mad_legacy_u16 v0, v0, 45, v1
	s_movk_i32 s9, 0x2d83
	s_waitcnt vmcnt(4) lgkmcnt(0)
	v_pk_mul_f32 v[44:45], v[42:43], v[24:25] op_sel:[0,1]
	s_nop 0
	v_pk_fma_f32 v[50:51], v[42:43], v[24:25], v[44:45] op_sel:[0,0,1] op_sel_hi:[1,1,0] neg_lo:[0,0,1] neg_hi:[0,0,1]
	v_pk_fma_f32 v[52:53], v[42:43], v[24:25], v[44:45] op_sel:[0,0,1] op_sel_hi:[1,0,0]
	ds_read2_b64 v[42:45], v167 offset0:4 offset1:247
	v_mov_b32_e32 v186, v27
	s_waitcnt vmcnt(3)
	v_mov_b32_e32 v174, v31
	v_mov_b32_e32 v51, v53
	v_mul_u32_u24_sdwa v52, v92, s9 dst_sel:DWORD dst_unused:UNUSED_PAD src0_sel:WORD_0 src1_sel:DWORD
	v_lshrrev_b32_e32 v112, 19, v52
	s_waitcnt vmcnt(2)
	v_pk_mul_f32 v[46:47], v[40:41], v[20:21] op_sel:[0,1]
	v_accvgpr_write_b32 a4, v23
	v_pk_fma_f32 v[54:55], v[40:41], v[20:21], v[46:47] op_sel:[0,0,1] op_sel_hi:[1,1,0] neg_lo:[0,0,1] neg_hi:[0,0,1]
	v_pk_fma_f32 v[56:57], v[40:41], v[20:21], v[46:47] op_sel:[0,0,1] op_sel_hi:[1,0,0]
	v_mov_b32_e32 v46, v23
	s_waitcnt lgkmcnt(0)
	v_pk_mul_f32 v[40:41], v[44:45], v[46:47] op_sel_hi:[1,0]
	v_mov_b32_e32 v55, v57
	v_pk_fma_f32 v[58:59], v[44:45], v[22:23], v[40:41] op_sel:[0,0,1] op_sel_hi:[1,1,0] neg_lo:[0,0,1] neg_hi:[0,0,1]
	v_pk_fma_f32 v[60:61], v[44:45], v[22:23], v[40:41] op_sel:[0,0,1] op_sel_hi:[1,0,0]
	ds_read2_b64 v[44:47], v169 offset0:2 offset1:245
	v_pk_mul_f32 v[40:41], v[42:43], v[174:175] op_sel_hi:[1,0]
	s_waitcnt vmcnt(1)
	v_mov_b32_e32 v168, v35
	v_pk_fma_f32 v[62:63], v[42:43], v[30:31], v[40:41] op_sel:[0,0,1] op_sel_hi:[1,1,0] neg_lo:[0,0,1] neg_hi:[0,0,1]
	v_pk_fma_f32 v[64:65], v[42:43], v[30:31], v[40:41] op_sel:[0,0,1] op_sel_hi:[1,0,0]
	s_waitcnt lgkmcnt(0)
	v_pk_mul_f32 v[40:41], v[46:47], v[28:29] op_sel:[0,1]
	v_mul_u32_u24_e32 v23, 45, v84
	v_pk_fma_f32 v[66:67], v[46:47], v[28:29], v[40:41] op_sel:[0,0,1] op_sel_hi:[1,1,0] neg_lo:[0,0,1] neg_hi:[0,0,1]
	v_pk_fma_f32 v[68:69], v[46:47], v[28:29], v[40:41] op_sel:[0,0,1] op_sel_hi:[1,0,0]
	ds_read2_b64 v[40:43], v163 offset0:6 offset1:249
	v_pk_mul_f32 v[46:47], v[44:45], v[32:33] op_sel:[0,1]
	s_waitcnt vmcnt(0)
	v_mov_b32_e32 v172, v39
	v_pk_fma_f32 v[70:71], v[44:45], v[32:33], v[46:47] op_sel:[0,0,1] op_sel_hi:[1,1,0] neg_lo:[0,0,1] neg_hi:[0,0,1]
	v_pk_fma_f32 v[72:73], v[44:45], v[32:33], v[46:47] op_sel:[0,0,1] op_sel_hi:[1,0,0]
	s_waitcnt lgkmcnt(0)
	v_pk_mul_f32 v[44:45], v[42:43], v[168:169] op_sel_hi:[1,0]
	v_pk_mul_f32 v[46:47], v[40:41], v[172:173] op_sel_hi:[1,0]
	v_pk_fma_f32 v[74:75], v[42:43], v[34:35], v[44:45] op_sel:[0,0,1] op_sel_hi:[1,1,0] neg_lo:[0,0,1] neg_hi:[0,0,1]
	v_pk_fma_f32 v[76:77], v[42:43], v[34:35], v[44:45] op_sel:[0,0,1] op_sel_hi:[1,0,0]
	ds_read2_b64 v[42:45], v165 offset0:12 offset1:255
	v_pk_fma_f32 v[78:79], v[40:41], v[38:39], v[46:47] op_sel:[0,0,1] op_sel_hi:[1,1,0] neg_lo:[0,0,1] neg_hi:[0,0,1]
	v_pk_fma_f32 v[40:41], v[40:41], v[38:39], v[46:47] op_sel:[0,0,1] op_sel_hi:[1,0,0]
	ds_read2_b64 v[46:49], v176 offset1:243
	v_mov_b32_e32 v79, v41
	s_waitcnt lgkmcnt(1)
	v_pk_mul_f32 v[80:81], v[44:45], v[36:37] op_sel:[0,1]
	v_add_lshl_u32 v23, v23, v85, 3
	v_pk_fma_f32 v[82:83], v[44:45], v[36:37], v[80:81] op_sel:[0,0,1] op_sel_hi:[1,1,0] neg_lo:[0,0,1] neg_hi:[0,0,1]
	v_pk_fma_f32 v[44:45], v[44:45], v[36:37], v[80:81] op_sel:[0,0,1] op_sel_hi:[1,0,0]
	v_mov_b32_e32 v71, v73
	v_mov_b32_e32 v83, v45
	s_waitcnt lgkmcnt(0)
	v_pk_add_f32 v[40:41], v[46:47], v[82:83]
	v_pk_add_f32 v[44:45], v[82:83], v[78:79]
	;; [unrolled: 1-line block ×3, first 2 shown]
	v_pk_add_f32 v[78:79], v[82:83], v[78:79] neg_lo:[0,1] neg_hi:[0,1]
	v_pk_fma_f32 v[44:45], v[44:45], 0.5, v[46:47] op_sel_hi:[1,0,1] neg_lo:[1,0,0] neg_hi:[1,0,0]
	v_pk_mul_f32 v[46:47], v[78:79], s[2:3] op_sel_hi:[1,0]
	v_mov_b32_e32 v75, v77
	v_pk_add_f32 v[78:79], v[44:45], v[46:47] op_sel:[0,1] op_sel_hi:[1,0]
	v_pk_add_f32 v[80:81], v[44:45], v[46:47] op_sel:[0,1] op_sel_hi:[1,0] neg_lo:[0,1] neg_hi:[0,1]
	v_mov_b32_e32 v84, v78
	v_mov_b32_e32 v85, v81
	ds_read_b64 v[82:83], v176 offset:27216
	ds_read2_b64 v[44:47], v173 offset0:6 offset1:249
	s_waitcnt lgkmcnt(0)
	s_barrier
	ds_write2_b64 v23, v[40:41], v[84:85] offset1:15
	v_pk_add_f32 v[40:41], v[70:71], v[74:75]
	v_mad_legacy_u16 v31, v88, 45, v89
	v_pk_fma_f32 v[40:41], v[40:41], 0.5, v[48:49] op_sel_hi:[1,0,1] neg_lo:[1,0,0] neg_hi:[1,0,0]
	v_pk_add_f32 v[48:49], v[48:49], v[70:71]
	v_pk_add_f32 v[70:71], v[70:71], v[74:75] neg_lo:[0,1] neg_hi:[0,1]
	v_mov_b32_e32 v81, v79
	v_pk_mul_f32 v[70:71], v[70:71], s[2:3] op_sel_hi:[1,0]
	v_pk_add_f32 v[48:49], v[48:49], v[74:75]
	v_pk_add_f32 v[72:73], v[40:41], v[70:71] op_sel:[0,1] op_sel_hi:[1,0] neg_lo:[0,1] neg_hi:[0,1]
	v_pk_add_f32 v[40:41], v[40:41], v[70:71] op_sel:[0,1] op_sel_hi:[1,0]
	v_lshlrev_b32_e32 v31, 3, v31
	v_mov_b32_e32 v70, v40
	v_mov_b32_e32 v71, v73
	;; [unrolled: 1-line block ×4, first 2 shown]
	ds_write_b64 v23, v[80:81] offset:240
	ds_write2_b64 v31, v[48:49], v[70:71] offset1:15
	v_pk_add_f32 v[48:49], v[66:67], v[62:63]
	v_pk_add_f32 v[64:65], v[66:67], v[62:63] neg_lo:[0,1] neg_hi:[0,1]
	v_pk_fma_f32 v[48:49], v[48:49], 0.5, v[44:45] op_sel_hi:[1,0,1] neg_lo:[1,0,0] neg_hi:[1,0,0]
	v_pk_mul_f32 v[64:65], v[64:65], s[2:3] op_sel_hi:[1,0]
	v_mov_b32_e32 v73, v41
	v_pk_add_f32 v[68:69], v[48:49], v[64:65] op_sel:[0,1] op_sel_hi:[1,0] neg_lo:[0,1] neg_hi:[0,1]
	v_pk_add_f32 v[48:49], v[48:49], v[64:65] op_sel:[0,1] op_sel_hi:[1,0]
	v_pk_add_f32 v[40:41], v[44:45], v[66:67]
	v_mad_legacy_u16 v35, v86, 45, v87
	v_pk_add_f32 v[40:41], v[40:41], v[62:63]
	v_lshlrev_b32_e32 v35, 3, v35
	v_mov_b32_e32 v44, v48
	v_mov_b32_e32 v45, v69
	v_mov_b32_e32 v59, v61
	ds_write_b64 v31, v[72:73] offset:240
	ds_write2_b64 v35, v[40:41], v[44:45] offset1:15
	v_pk_add_f32 v[40:41], v[54:55], v[58:59]
	v_pk_add_f32 v[44:45], v[46:47], v[54:55]
	v_pk_fma_f32 v[40:41], v[40:41], 0.5, v[46:47] op_sel_hi:[1,0,1] neg_lo:[1,0,0] neg_hi:[1,0,0]
	v_pk_add_f32 v[46:47], v[54:55], v[58:59] neg_lo:[0,1] neg_hi:[0,1]
	v_mov_b32_e32 v69, v49
	v_pk_mul_f32 v[46:47], v[46:47], s[2:3] op_sel_hi:[1,0]
	v_pk_add_f32 v[44:45], v[44:45], v[58:59]
	v_pk_add_f32 v[54:55], v[40:41], v[46:47] op_sel:[0,1] op_sel_hi:[1,0] neg_lo:[0,1] neg_hi:[0,1]
	v_pk_add_f32 v[40:41], v[40:41], v[46:47] op_sel:[0,1] op_sel_hi:[1,0]
	v_lshlrev_b32_e32 v39, 3, v0
	v_mov_b32_e32 v46, v40
	v_mov_b32_e32 v47, v55
	ds_write_b64 v35, v[68:69] offset:240
	ds_write2_b64 v39, v[44:45], v[46:47] offset1:15
	v_pk_mul_f32 v[44:45], v[82:83], v[186:187] op_sel_hi:[1,0]
	v_mad_legacy_u16 v0, v2, 45, v3
	v_pk_fma_f32 v[46:47], v[82:83], v[26:27], v[44:45] op_sel:[0,0,1] op_sel_hi:[1,1,0] neg_lo:[0,0,1] neg_hi:[0,0,1]
	v_pk_fma_f32 v[44:45], v[82:83], v[26:27], v[44:45] op_sel:[0,0,1] op_sel_hi:[1,0,0]
	v_mul_u32_u24_sdwa v2, v116, s9 dst_sel:DWORD dst_unused:UNUSED_PAD src0_sel:WORD_0 src1_sel:DWORD
	v_mov_b32_e32 v47, v45
	v_pk_add_f32 v[44:45], v[50:51], v[46:47]
	v_pk_add_f32 v[48:49], v[50:51], v[46:47] neg_lo:[0,1] neg_hi:[0,1]
	v_pk_fma_f32 v[44:45], v[44:45], 0.5, v[42:43] op_sel_hi:[1,0,1] neg_lo:[1,0,0] neg_hi:[1,0,0]
	v_pk_mul_f32 v[48:49], v[48:49], s[2:3] op_sel_hi:[1,0]
	v_lshrrev_b32_e32 v2, 19, v2
	v_pk_add_f32 v[42:43], v[42:43], v[50:51]
	v_pk_add_f32 v[50:51], v[44:45], v[48:49] op_sel:[0,1] op_sel_hi:[1,0] neg_lo:[0,1] neg_hi:[0,1]
	v_pk_add_f32 v[44:45], v[44:45], v[48:49] op_sel:[0,1] op_sel_hi:[1,0]
	v_mul_lo_u16_e32 v3, 45, v2
	v_mov_b32_e32 v55, v41
	v_pk_add_f32 v[40:41], v[42:43], v[46:47]
	v_lshlrev_b32_e32 v27, 3, v0
	v_mov_b32_e32 v42, v44
	v_mov_b32_e32 v43, v51
	v_sub_u16_e32 v3, v116, v3
	ds_write_b64 v39, v[54:55] offset:240
	ds_write2_b64 v27, v[40:41], v[42:43] offset1:15
	v_lshlrev_b16_e32 v40, 4, v3
	v_mov_b32_e32 v41, v177
	v_mov_b32_e32 v51, v45
	v_mul_u32_u24_sdwa v0, v108, s9 dst_sel:DWORD dst_unused:UNUSED_PAD src0_sel:WORD_0 src1_sel:DWORD
	v_lshl_add_u64 v[40:41], s[10:11], 0, v[40:41]
	ds_write_b64 v27, v[50:51] offset:240
	s_waitcnt lgkmcnt(0)
	s_barrier
	v_lshrrev_b32_e32 v0, 19, v0
	global_load_dwordx4 v[40:43], v[40:41], off offset:320
	v_mul_lo_u16_e32 v1, 45, v0
	v_sub_u16_e32 v1, v108, v1
	v_lshlrev_b16_e32 v44, 4, v1
	v_mov_b32_e32 v45, v177
	v_lshl_add_u64 v[44:45], s[10:11], 0, v[44:45]
	global_load_dwordx4 v[48:51], v[44:45], off offset:320
	v_mul_u32_u24_sdwa v46, v110, s9 dst_sel:DWORD dst_unused:UNUSED_PAD src0_sel:WORD_0 src1_sel:DWORD
	v_lshrrev_b32_e32 v109, 19, v46
	v_mul_lo_u16_e32 v46, 45, v109
	v_sub_u16_e32 v111, v110, v46
	v_lshlrev_b16_e32 v44, 4, v111
	v_mov_b32_e32 v45, v177
	v_lshl_add_u64 v[44:45], s[10:11], 0, v[44:45]
	s_movk_i32 s9, 0x6d
	global_load_dwordx4 v[44:47], v[44:45], off offset:320
	v_mul_lo_u16_sdwa v56, v134, s9 dst_sel:DWORD dst_unused:UNUSED_PAD src0_sel:BYTE_0 src1_sel:DWORD
	v_sub_u16_sdwa v54, v134, v56 dst_sel:DWORD dst_unused:UNUSED_PAD src0_sel:DWORD src1_sel:BYTE_1
	v_lshrrev_b16_e32 v57, 1, v54
	v_mul_lo_u16_e32 v52, 45, v112
	v_and_b32_e32 v57, 0x7f, v57
	v_sub_u16_e32 v113, v92, v52
	v_add_u16_sdwa v56, v57, v56 dst_sel:DWORD dst_unused:UNUSED_PAD src0_sel:DWORD src1_sel:BYTE_1
	v_lshlrev_b16_e32 v52, 4, v113
	v_mov_b32_e32 v53, v177
	v_lshrrev_b16_e32 v106, 5, v56
	v_lshl_add_u64 v[52:53], s[10:11], 0, v[52:53]
	global_load_dwordx4 v[52:55], v[52:53], off offset:320
	v_mul_lo_u16_e32 v56, 45, v106
	v_sub_u16_e32 v56, v134, v56
	v_and_b32_e32 v107, 0xff, v56
	v_lshlrev_b32_e32 v56, 4, v107
	global_load_dwordx4 v[56:59], v56, s[10:11] offset:320
	ds_read2_b64 v[60:63], v171 offset0:8 offset1:251
	s_movk_i32 s9, 0x87
	v_mad_legacy_u16 v0, v0, s9, v1
	v_cmp_gt_u16_e32 vcc, s9, v134
	s_waitcnt vmcnt(4) lgkmcnt(0)
	v_pk_mul_f32 v[64:65], v[62:63], v[40:41] op_sel:[0,1]
	s_nop 0
	v_pk_fma_f32 v[70:71], v[62:63], v[40:41], v[64:65] op_sel:[0,0,1] op_sel_hi:[1,1,0] neg_lo:[0,0,1] neg_hi:[0,0,1]
	v_pk_fma_f32 v[72:73], v[62:63], v[40:41], v[64:65] op_sel:[0,0,1] op_sel_hi:[1,0,0]
	ds_read2_b64 v[62:65], v167 offset0:4 offset1:247
	v_mov_b32_e32 v196, v43
	v_mov_b32_e32 v71, v73
	s_waitcnt vmcnt(3)
	v_pk_mul_f32 v[66:67], v[60:61], v[48:49] op_sel:[0,1]
	v_mov_b32_e32 v184, v51
	v_pk_fma_f32 v[74:75], v[60:61], v[48:49], v[66:67] op_sel:[0,0,1] op_sel_hi:[1,1,0] neg_lo:[0,0,1] neg_hi:[0,0,1]
	v_pk_fma_f32 v[76:77], v[60:61], v[48:49], v[66:67] op_sel:[0,0,1] op_sel_hi:[1,0,0]
	s_waitcnt lgkmcnt(0)
	v_pk_mul_f32 v[60:61], v[64:65], v[184:185] op_sel_hi:[1,0]
	v_mov_b32_e32 v75, v77
	v_pk_fma_f32 v[78:79], v[64:65], v[50:51], v[60:61] op_sel:[0,0,1] op_sel_hi:[1,1,0] neg_lo:[0,0,1] neg_hi:[0,0,1]
	v_pk_fma_f32 v[80:81], v[64:65], v[50:51], v[60:61] op_sel:[0,0,1] op_sel_hi:[1,0,0]
	ds_read2_b64 v[64:67], v169 offset0:2 offset1:245
	s_waitcnt vmcnt(2)
	v_mov_b32_e32 v182, v47
	v_pk_mul_f32 v[60:61], v[62:63], v[182:183] op_sel_hi:[1,0]
	v_mad_legacy_u16 v51, v112, s9, v113
	v_pk_fma_f32 v[82:83], v[62:63], v[46:47], v[60:61] op_sel:[0,0,1] op_sel_hi:[1,1,0] neg_lo:[0,0,1] neg_hi:[0,0,1]
	v_pk_fma_f32 v[84:85], v[62:63], v[46:47], v[60:61] op_sel:[0,0,1] op_sel_hi:[1,0,0]
	s_waitcnt lgkmcnt(0)
	v_pk_mul_f32 v[60:61], v[66:67], v[44:45] op_sel:[0,1]
	v_mul_u32_u24_e32 v47, 0x87, v106
	v_pk_fma_f32 v[86:87], v[66:67], v[44:45], v[60:61] op_sel:[0,0,1] op_sel_hi:[1,1,0] neg_lo:[0,0,1] neg_hi:[0,0,1]
	v_pk_fma_f32 v[88:89], v[66:67], v[44:45], v[60:61] op_sel:[0,0,1] op_sel_hi:[1,0,0]
	ds_read2_b64 v[60:63], v163 offset0:6 offset1:249
	v_add_lshl_u32 v47, v47, v107, 3
	v_lshlrev_b32_e32 v51, 3, v51
	s_waitcnt vmcnt(1)
	v_pk_mul_f32 v[66:67], v[64:65], v[52:53] op_sel:[0,1]
	v_mov_b32_e32 v178, v55
	v_pk_fma_f32 v[90:91], v[64:65], v[52:53], v[66:67] op_sel:[0,0,1] op_sel_hi:[1,1,0] neg_lo:[0,0,1] neg_hi:[0,0,1]
	v_pk_fma_f32 v[94:95], v[64:65], v[52:53], v[66:67] op_sel:[0,0,1] op_sel_hi:[1,0,0]
	s_waitcnt lgkmcnt(0)
	v_pk_mul_f32 v[64:65], v[62:63], v[178:179] op_sel_hi:[1,0]
	s_waitcnt vmcnt(0)
	v_mov_b32_e32 v180, v59
	v_pk_fma_f32 v[96:97], v[62:63], v[54:55], v[64:65] op_sel:[0,0,1] op_sel_hi:[1,1,0] neg_lo:[0,0,1] neg_hi:[0,0,1]
	v_pk_fma_f32 v[98:99], v[62:63], v[54:55], v[64:65] op_sel:[0,0,1] op_sel_hi:[1,0,0]
	ds_read2_b64 v[62:65], v165 offset0:12 offset1:255
	v_pk_mul_f32 v[66:67], v[60:61], v[180:181] op_sel_hi:[1,0]
	v_mov_b32_e32 v91, v95
	v_pk_fma_f32 v[100:101], v[60:61], v[58:59], v[66:67] op_sel:[0,0,1] op_sel_hi:[1,1,0] neg_lo:[0,0,1] neg_hi:[0,0,1]
	v_pk_fma_f32 v[60:61], v[60:61], v[58:59], v[66:67] op_sel:[0,0,1] op_sel_hi:[1,0,0]
	ds_read2_b64 v[66:69], v176 offset1:243
	s_waitcnt lgkmcnt(1)
	v_pk_mul_f32 v[102:103], v[64:65], v[56:57] op_sel:[0,1]
	v_mov_b32_e32 v101, v61
	v_pk_fma_f32 v[104:105], v[64:65], v[56:57], v[102:103] op_sel:[0,0,1] op_sel_hi:[1,1,0] neg_lo:[0,0,1] neg_hi:[0,0,1]
	v_pk_fma_f32 v[64:65], v[64:65], v[56:57], v[102:103] op_sel:[0,0,1] op_sel_hi:[1,0,0]
	v_mov_b32_e32 v97, v99
	v_mov_b32_e32 v105, v65
	s_waitcnt lgkmcnt(0)
	v_pk_add_f32 v[60:61], v[66:67], v[104:105]
	v_pk_add_f32 v[64:65], v[104:105], v[100:101]
	;; [unrolled: 1-line block ×3, first 2 shown]
	v_pk_add_f32 v[100:101], v[104:105], v[100:101] neg_lo:[0,1] neg_hi:[0,1]
	v_pk_fma_f32 v[64:65], v[64:65], 0.5, v[66:67] op_sel_hi:[1,0,1] neg_lo:[1,0,0] neg_hi:[1,0,0]
	v_pk_mul_f32 v[66:67], v[100:101], s[2:3] op_sel_hi:[1,0]
	v_mov_b32_e32 v87, v89
	v_pk_add_f32 v[100:101], v[64:65], v[66:67] op_sel:[0,1] op_sel_hi:[1,0]
	v_pk_add_f32 v[102:103], v[64:65], v[66:67] op_sel:[0,1] op_sel_hi:[1,0] neg_lo:[0,1] neg_hi:[0,1]
	v_mov_b32_e32 v106, v100
	v_mov_b32_e32 v107, v103
	ds_read_b64 v[104:105], v176 offset:27216
	ds_read2_b64 v[64:67], v173 offset0:6 offset1:249
	s_waitcnt lgkmcnt(0)
	s_barrier
	ds_write2_b64 v47, v[60:61], v[106:107] offset1:45
	v_pk_add_f32 v[60:61], v[90:91], v[96:97]
	v_mov_b32_e32 v103, v101
	v_pk_fma_f32 v[60:61], v[60:61], 0.5, v[68:69] op_sel_hi:[1,0,1] neg_lo:[1,0,0] neg_hi:[1,0,0]
	v_pk_add_f32 v[68:69], v[68:69], v[90:91]
	v_pk_add_f32 v[90:91], v[90:91], v[96:97] neg_lo:[0,1] neg_hi:[0,1]
	v_pk_add_f32 v[68:69], v[68:69], v[96:97]
	v_pk_mul_f32 v[90:91], v[90:91], s[2:3] op_sel_hi:[1,0]
	v_mov_b32_e32 v83, v85
	v_pk_add_f32 v[94:95], v[60:61], v[90:91] op_sel:[0,1] op_sel_hi:[1,0] neg_lo:[0,1] neg_hi:[0,1]
	v_pk_add_f32 v[60:61], v[60:61], v[90:91] op_sel:[0,1] op_sel_hi:[1,0]
	v_mov_b32_e32 v91, v95
	v_mov_b32_e32 v90, v60
	ds_write_b64 v47, v[102:103] offset:720
	ds_write2_b64 v51, v[68:69], v[90:91] offset1:45
	v_pk_add_f32 v[68:69], v[86:87], v[82:83]
	v_pk_add_f32 v[84:85], v[86:87], v[82:83] neg_lo:[0,1] neg_hi:[0,1]
	v_pk_fma_f32 v[68:69], v[68:69], 0.5, v[64:65] op_sel_hi:[1,0,1] neg_lo:[1,0,0] neg_hi:[1,0,0]
	v_pk_mul_f32 v[84:85], v[84:85], s[2:3] op_sel_hi:[1,0]
	v_mov_b32_e32 v95, v61
	v_pk_add_f32 v[88:89], v[68:69], v[84:85] op_sel:[0,1] op_sel_hi:[1,0] neg_lo:[0,1] neg_hi:[0,1]
	v_pk_add_f32 v[68:69], v[68:69], v[84:85] op_sel:[0,1] op_sel_hi:[1,0]
	v_pk_add_f32 v[60:61], v[64:65], v[86:87]
	v_mad_legacy_u16 v55, v109, s9, v111
	v_pk_add_f32 v[60:61], v[60:61], v[82:83]
	v_lshlrev_b32_e32 v55, 3, v55
	v_mov_b32_e32 v64, v68
	v_mov_b32_e32 v65, v89
	;; [unrolled: 1-line block ×3, first 2 shown]
	ds_write_b64 v51, v[94:95] offset:720
	ds_write2_b64 v55, v[60:61], v[64:65] offset1:45
	v_pk_add_f32 v[60:61], v[74:75], v[78:79]
	v_pk_add_f32 v[64:65], v[66:67], v[74:75]
	v_pk_fma_f32 v[60:61], v[60:61], 0.5, v[66:67] op_sel_hi:[1,0,1] neg_lo:[1,0,0] neg_hi:[1,0,0]
	v_pk_add_f32 v[66:67], v[74:75], v[78:79] neg_lo:[0,1] neg_hi:[0,1]
	v_mov_b32_e32 v89, v69
	v_pk_mul_f32 v[66:67], v[66:67], s[2:3] op_sel_hi:[1,0]
	v_pk_add_f32 v[64:65], v[64:65], v[78:79]
	v_pk_add_f32 v[74:75], v[60:61], v[66:67] op_sel:[0,1] op_sel_hi:[1,0] neg_lo:[0,1] neg_hi:[0,1]
	v_pk_add_f32 v[60:61], v[60:61], v[66:67] op_sel:[0,1] op_sel_hi:[1,0]
	v_lshlrev_b32_e32 v59, 3, v0
	v_mov_b32_e32 v66, v60
	v_mov_b32_e32 v67, v75
	ds_write_b64 v55, v[88:89] offset:720
	ds_write2_b64 v59, v[64:65], v[66:67] offset1:45
	v_pk_mul_f32 v[64:65], v[104:105], v[196:197] op_sel_hi:[1,0]
	v_mad_legacy_u16 v0, v2, s9, v3
	v_pk_fma_f32 v[66:67], v[104:105], v[42:43], v[64:65] op_sel:[0,0,1] op_sel_hi:[1,1,0] neg_lo:[0,0,1] neg_hi:[0,0,1]
	v_pk_fma_f32 v[64:65], v[104:105], v[42:43], v[64:65] op_sel:[0,0,1] op_sel_hi:[1,0,0]
	v_mul_u32_u24_sdwa v2, v116, s13 dst_sel:DWORD dst_unused:UNUSED_PAD src0_sel:WORD_0 src1_sel:DWORD
	v_mov_b32_e32 v67, v65
	v_pk_add_f32 v[64:65], v[70:71], v[66:67]
	v_pk_add_f32 v[68:69], v[70:71], v[66:67] neg_lo:[0,1] neg_hi:[0,1]
	v_pk_fma_f32 v[64:65], v[64:65], 0.5, v[62:63] op_sel_hi:[1,0,1] neg_lo:[1,0,0] neg_hi:[1,0,0]
	v_pk_mul_f32 v[68:69], v[68:69], s[2:3] op_sel_hi:[1,0]
	v_lshrrev_b32_e32 v2, 22, v2
	v_pk_add_f32 v[62:63], v[62:63], v[70:71]
	v_pk_add_f32 v[70:71], v[64:65], v[68:69] op_sel:[0,1] op_sel_hi:[1,0] neg_lo:[0,1] neg_hi:[0,1]
	v_pk_add_f32 v[64:65], v[64:65], v[68:69] op_sel:[0,1] op_sel_hi:[1,0]
	v_mul_lo_u16_e32 v3, 0x87, v2
	v_mov_b32_e32 v75, v61
	v_pk_add_f32 v[60:61], v[62:63], v[66:67]
	v_lshlrev_b32_e32 v43, 3, v0
	v_mov_b32_e32 v62, v64
	v_mov_b32_e32 v63, v71
	v_sub_u16_e32 v3, v116, v3
	ds_write_b64 v59, v[74:75] offset:720
	ds_write2_b64 v43, v[60:61], v[62:63] offset1:45
	v_lshlrev_b16_e32 v60, 4, v3
	v_mov_b32_e32 v61, v177
	v_mov_b32_e32 v71, v65
	v_mul_u32_u24_sdwa v0, v108, s13 dst_sel:DWORD dst_unused:UNUSED_PAD src0_sel:WORD_0 src1_sel:DWORD
	v_lshl_add_u64 v[60:61], s[10:11], 0, v[60:61]
	ds_write_b64 v43, v[70:71] offset:720
	s_waitcnt lgkmcnt(0)
	s_barrier
	v_lshrrev_b32_e32 v0, 22, v0
	global_load_dwordx4 v[60:63], v[60:61], off offset:1040
	v_mul_lo_u16_e32 v1, 0x87, v0
	v_sub_u16_e32 v1, v108, v1
	v_lshlrev_b16_e32 v64, 4, v1
	v_mov_b32_e32 v65, v177
	v_lshl_add_u64 v[64:65], s[10:11], 0, v[64:65]
	global_load_dwordx4 v[68:71], v[64:65], off offset:1040
	v_mul_u32_u24_sdwa v66, v110, s13 dst_sel:DWORD dst_unused:UNUSED_PAD src0_sel:WORD_0 src1_sel:DWORD
	v_lshrrev_b32_e32 v109, 22, v66
	v_mul_lo_u16_e32 v64, 0x87, v109
	v_sub_u16_e32 v111, v110, v64
	v_lshlrev_b16_e32 v64, 4, v111
	v_mov_b32_e32 v65, v177
	v_lshl_add_u64 v[64:65], s[10:11], 0, v[64:65]
	global_load_dwordx4 v[64:67], v[64:65], off offset:1040
	v_mul_u32_u24_sdwa v72, v92, s13 dst_sel:DWORD dst_unused:UNUSED_PAD src0_sel:WORD_0 src1_sel:DWORD
	v_lshrrev_b32_e32 v117, 22, v72
	v_mul_lo_u16_e32 v72, 0x87, v117
	v_sub_u16_e32 v121, v92, v72
	v_lshlrev_b16_e32 v72, 4, v121
	v_mov_b32_e32 v73, v177
	v_lshl_add_u64 v[72:73], s[10:11], 0, v[72:73]
	global_load_dwordx4 v[72:75], v[72:73], off offset:1040
	v_lshl_add_u64 v[76:77], v[134:135], 0, s[14:15]
	v_cndmask_b32_e64 v89, v77, 0, vcc
	v_cndmask_b32_e32 v88, v76, v134, vcc
	v_lshl_add_u64 v[76:77], v[88:89], 4, s[10:11]
	global_load_dwordx4 v[76:79], v[76:77], off offset:1040
	ds_read2_b64 v[80:83], v171 offset0:8 offset1:251
	s_movk_i32 s9, 0x86
	v_cmp_lt_u16_e32 vcc, s9, v134
	s_movk_i32 s9, 0x195
	v_mad_legacy_u16 v0, v0, s9, v1
	s_movk_i32 s13, 0x43a3
	s_movk_i32 s14, 0xff5e
	s_mov_b32 s15, -1
	v_lshlrev_b32_e32 v110, 4, v110
	s_waitcnt vmcnt(4) lgkmcnt(0)
	v_pk_mul_f32 v[84:85], v[82:83], v[60:61] op_sel:[0,1]
	s_nop 0
	v_pk_fma_f32 v[90:91], v[82:83], v[60:61], v[84:85] op_sel:[0,0,1] op_sel_hi:[1,1,0] neg_lo:[0,0,1] neg_hi:[0,0,1]
	v_pk_fma_f32 v[94:95], v[82:83], v[60:61], v[84:85] op_sel:[0,0,1] op_sel_hi:[1,0,0]
	ds_read2_b64 v[82:85], v167 offset0:4 offset1:247
	v_mov_b32_e32 v210, v63
	v_mov_b32_e32 v91, v95
	s_waitcnt vmcnt(3)
	v_pk_mul_f32 v[86:87], v[80:81], v[68:69] op_sel:[0,1]
	v_mov_b32_e32 v194, v71
	v_pk_fma_f32 v[96:97], v[80:81], v[68:69], v[86:87] op_sel:[0,0,1] op_sel_hi:[1,1,0] neg_lo:[0,0,1] neg_hi:[0,0,1]
	v_pk_fma_f32 v[98:99], v[80:81], v[68:69], v[86:87] op_sel:[0,0,1] op_sel_hi:[1,0,0]
	s_waitcnt lgkmcnt(0)
	v_pk_mul_f32 v[80:81], v[84:85], v[194:195] op_sel_hi:[1,0]
	v_mov_b32_e32 v97, v99
	v_pk_fma_f32 v[100:101], v[84:85], v[70:71], v[80:81] op_sel:[0,0,1] op_sel_hi:[1,1,0] neg_lo:[0,0,1] neg_hi:[0,0,1]
	v_pk_fma_f32 v[102:103], v[84:85], v[70:71], v[80:81] op_sel:[0,0,1] op_sel_hi:[1,0,0]
	ds_read2_b64 v[84:87], v169 offset0:2 offset1:245
	s_waitcnt vmcnt(2)
	v_mov_b32_e32 v192, v67
	v_pk_mul_f32 v[80:81], v[82:83], v[192:193] op_sel_hi:[1,0]
	v_mad_legacy_u16 v71, v117, s9, v121
	v_pk_fma_f32 v[104:105], v[82:83], v[66:67], v[80:81] op_sel:[0,0,1] op_sel_hi:[1,1,0] neg_lo:[0,0,1] neg_hi:[0,0,1]
	v_pk_fma_f32 v[106:107], v[82:83], v[66:67], v[80:81] op_sel:[0,0,1] op_sel_hi:[1,0,0]
	s_waitcnt lgkmcnt(0)
	v_pk_mul_f32 v[80:81], v[86:87], v[64:65] op_sel:[0,1]
	v_mov_b32_e32 v67, 0x195
	v_pk_fma_f32 v[112:113], v[86:87], v[64:65], v[80:81] op_sel:[0,0,1] op_sel_hi:[1,1,0] neg_lo:[0,0,1] neg_hi:[0,0,1]
	v_pk_fma_f32 v[114:115], v[86:87], v[64:65], v[80:81] op_sel:[0,0,1] op_sel_hi:[1,0,0]
	ds_read2_b64 v[80:83], v163 offset0:6 offset1:249
	s_waitcnt vmcnt(1)
	v_pk_mul_f32 v[86:87], v[84:85], v[72:73] op_sel:[0,1]
	v_mov_b32_e32 v190, v75
	v_pk_fma_f32 v[188:189], v[84:85], v[72:73], v[86:87] op_sel:[0,0,1] op_sel_hi:[1,0,0]
	v_pk_fma_f32 v[118:119], v[84:85], v[72:73], v[86:87] op_sel:[0,0,1] op_sel_hi:[1,1,0] neg_lo:[0,0,1] neg_hi:[0,0,1]
	s_waitcnt lgkmcnt(0)
	v_pk_mul_f32 v[84:85], v[82:83], v[190:191] op_sel_hi:[1,0]
	s_waitcnt vmcnt(0)
	v_mov_b32_e32 v188, v79
	v_pk_fma_f32 v[198:199], v[82:83], v[74:75], v[84:85] op_sel:[0,0,1] op_sel_hi:[1,1,0] neg_lo:[0,0,1] neg_hi:[0,0,1]
	v_pk_fma_f32 v[200:201], v[82:83], v[74:75], v[84:85] op_sel:[0,0,1] op_sel_hi:[1,0,0]
	v_pk_mul_f32 v[82:83], v[80:81], v[188:189] op_sel_hi:[1,0]
	ds_read2_b64 v[84:87], v176 offset1:243
	v_pk_fma_f32 v[202:203], v[80:81], v[78:79], v[82:83] op_sel:[0,0,1] op_sel_hi:[1,1,0] neg_lo:[0,0,1] neg_hi:[0,0,1]
	v_pk_fma_f32 v[204:205], v[80:81], v[78:79], v[82:83] op_sel:[0,0,1] op_sel_hi:[1,0,0]
	ds_read2_b64 v[80:83], v165 offset0:12 offset1:255
	v_cndmask_b32_e32 v67, 0, v67, vcc
	v_add_lshl_u32 v67, v88, v67, 3
	v_mov_b32_e32 v203, v205
	v_mov_b32_e32 v119, v189
	s_waitcnt lgkmcnt(0)
	v_pk_mul_f32 v[88:89], v[82:83], v[76:77] op_sel:[0,1]
	v_mov_b32_e32 v199, v201
	v_pk_fma_f32 v[206:207], v[82:83], v[76:77], v[88:89] op_sel:[0,0,1] op_sel_hi:[1,1,0] neg_lo:[0,0,1] neg_hi:[0,0,1]
	v_pk_fma_f32 v[82:83], v[82:83], v[76:77], v[88:89] op_sel:[0,0,1] op_sel_hi:[1,0,0]
	v_lshlrev_b32_e32 v71, 3, v71
	v_mov_b32_e32 v207, v83
	v_pk_add_f32 v[82:83], v[84:85], v[206:207]
	v_mov_b32_e32 v113, v115
	v_pk_add_f32 v[88:89], v[82:83], v[202:203]
	v_pk_add_f32 v[82:83], v[206:207], v[202:203]
	v_pk_add_f32 v[202:203], v[206:207], v[202:203] neg_lo:[0,1] neg_hi:[0,1]
	v_pk_fma_f32 v[82:83], v[82:83], 0.5, v[84:85] op_sel_hi:[1,0,1] neg_lo:[1,0,0] neg_hi:[1,0,0]
	v_pk_mul_f32 v[84:85], v[202:203], s[2:3] op_sel_hi:[1,0]
	v_mov_b32_e32 v105, v107
	v_pk_add_f32 v[202:203], v[82:83], v[84:85] op_sel:[0,1] op_sel_hi:[1,0]
	v_pk_add_f32 v[204:205], v[82:83], v[84:85] op_sel:[0,1] op_sel_hi:[1,0] neg_lo:[0,1] neg_hi:[0,1]
	v_mov_b32_e32 v208, v202
	v_mov_b32_e32 v209, v205
	ds_read_b64 v[206:207], v176 offset:27216
	ds_read2_b64 v[82:85], v173 offset0:6 offset1:249
	s_waitcnt lgkmcnt(0)
	s_barrier
	ds_write2_b64 v67, v[88:89], v[208:209] offset1:135
	v_pk_add_f32 v[88:89], v[118:119], v[198:199]
	v_mov_b32_e32 v205, v203
	v_pk_fma_f32 v[88:89], v[88:89], 0.5, v[86:87] op_sel_hi:[1,0,1] neg_lo:[1,0,0] neg_hi:[1,0,0]
	v_pk_add_f32 v[86:87], v[86:87], v[118:119]
	v_pk_add_f32 v[118:119], v[118:119], v[198:199] neg_lo:[0,1] neg_hi:[0,1]
	v_pk_add_f32 v[86:87], v[86:87], v[198:199]
	v_pk_mul_f32 v[118:119], v[118:119], s[2:3] op_sel_hi:[1,0]
	ds_write_b64 v67, v[204:205] offset:2160
	v_pk_add_f32 v[200:201], v[88:89], v[118:119] op_sel:[0,1] op_sel_hi:[1,0] neg_lo:[0,1] neg_hi:[0,1]
	v_pk_add_f32 v[88:89], v[88:89], v[118:119] op_sel:[0,1] op_sel_hi:[1,0]
	v_mov_b32_e32 v119, v201
	v_mov_b32_e32 v118, v88
	ds_write2_b64 v71, v[86:87], v[118:119] offset1:135
	v_pk_add_f32 v[86:87], v[112:113], v[104:105]
	v_pk_add_f32 v[106:107], v[112:113], v[104:105] neg_lo:[0,1] neg_hi:[0,1]
	v_pk_fma_f32 v[86:87], v[86:87], 0.5, v[82:83] op_sel_hi:[1,0,1] neg_lo:[1,0,0] neg_hi:[1,0,0]
	v_pk_mul_f32 v[106:107], v[106:107], s[2:3] op_sel_hi:[1,0]
	v_pk_add_f32 v[82:83], v[82:83], v[112:113]
	v_pk_add_f32 v[114:115], v[86:87], v[106:107] op_sel:[0,1] op_sel_hi:[1,0] neg_lo:[0,1] neg_hi:[0,1]
	v_pk_add_f32 v[86:87], v[86:87], v[106:107] op_sel:[0,1] op_sel_hi:[1,0]
	v_mad_legacy_u16 v75, v109, s9, v111
	v_mov_b32_e32 v201, v89
	v_pk_add_f32 v[82:83], v[82:83], v[104:105]
	v_lshlrev_b32_e32 v75, 3, v75
	v_mov_b32_e32 v88, v86
	v_mov_b32_e32 v89, v115
	;; [unrolled: 1-line block ×3, first 2 shown]
	ds_write_b64 v71, v[200:201] offset:2160
	ds_write2_b64 v75, v[82:83], v[88:89] offset1:135
	v_pk_add_f32 v[82:83], v[96:97], v[100:101]
	v_pk_add_f32 v[88:89], v[96:97], v[100:101] neg_lo:[0,1] neg_hi:[0,1]
	v_pk_fma_f32 v[82:83], v[82:83], 0.5, v[84:85] op_sel_hi:[1,0,1] neg_lo:[1,0,0] neg_hi:[1,0,0]
	v_pk_mul_f32 v[88:89], v[88:89], s[2:3] op_sel_hi:[1,0]
	v_pk_add_f32 v[84:85], v[84:85], v[96:97]
	v_pk_add_f32 v[96:97], v[82:83], v[88:89] op_sel:[0,1] op_sel_hi:[1,0] neg_lo:[0,1] neg_hi:[0,1]
	v_pk_add_f32 v[82:83], v[82:83], v[88:89] op_sel:[0,1] op_sel_hi:[1,0]
	v_mov_b32_e32 v115, v87
	v_pk_add_f32 v[84:85], v[84:85], v[100:101]
	v_lshlrev_b32_e32 v79, 3, v0
	v_mov_b32_e32 v86, v82
	v_mov_b32_e32 v87, v97
	ds_write_b64 v75, v[114:115] offset:2160
	ds_write2_b64 v79, v[84:85], v[86:87] offset1:135
	v_pk_mul_f32 v[84:85], v[206:207], v[210:211] op_sel_hi:[1,0]
	v_mad_legacy_u16 v0, v2, s9, v3
	v_pk_fma_f32 v[86:87], v[206:207], v[62:63], v[84:85] op_sel:[0,0,1] op_sel_hi:[1,1,0] neg_lo:[0,0,1] neg_hi:[0,0,1]
	v_pk_fma_f32 v[84:85], v[206:207], v[62:63], v[84:85] op_sel:[0,0,1] op_sel_hi:[1,0,0]
	v_lshlrev_b32_e32 v63, 3, v0
	v_mul_u32_u24_sdwa v0, v108, s13 dst_sel:DWORD dst_unused:UNUSED_PAD src0_sel:WORD_0 src1_sel:DWORD
	v_sub_u16_sdwa v1, v108, v0 dst_sel:DWORD dst_unused:UNUSED_PAD src0_sel:DWORD src1_sel:WORD_1
	v_lshrrev_b16_e32 v1, 1, v1
	v_add_u16_sdwa v0, v1, v0 dst_sel:DWORD dst_unused:UNUSED_PAD src0_sel:DWORD src1_sel:WORD_1
	v_mul_u32_u24_sdwa v1, v116, s13 dst_sel:DWORD dst_unused:UNUSED_PAD src0_sel:WORD_0 src1_sel:DWORD
	v_mov_b32_e32 v87, v85
	v_sub_u16_sdwa v2, v116, v1 dst_sel:DWORD dst_unused:UNUSED_PAD src0_sel:DWORD src1_sel:WORD_1
	v_pk_add_f32 v[84:85], v[90:91], v[86:87]
	v_pk_add_f32 v[88:89], v[90:91], v[86:87] neg_lo:[0,1] neg_hi:[0,1]
	v_lshrrev_b16_e32 v2, 1, v2
	v_pk_fma_f32 v[84:85], v[84:85], 0.5, v[80:81] op_sel_hi:[1,0,1] neg_lo:[1,0,0] neg_hi:[1,0,0]
	v_pk_mul_f32 v[88:89], v[88:89], s[2:3] op_sel_hi:[1,0]
	v_add_u16_sdwa v1, v2, v1 dst_sel:DWORD dst_unused:UNUSED_PAD src0_sel:DWORD src1_sel:WORD_1
	v_pk_add_f32 v[80:81], v[80:81], v[90:91]
	v_pk_add_f32 v[90:91], v[84:85], v[88:89] op_sel:[0,1] op_sel_hi:[1,0] neg_lo:[0,1] neg_hi:[0,1]
	v_pk_add_f32 v[84:85], v[84:85], v[88:89] op_sel:[0,1] op_sel_hi:[1,0]
	v_mul_lo_u16_sdwa v1, v1, s9 dst_sel:DWORD dst_unused:UNUSED_PAD src0_sel:BYTE_1 src1_sel:DWORD
	v_mov_b32_e32 v97, v83
	v_pk_add_f32 v[80:81], v[80:81], v[86:87]
	v_mov_b32_e32 v82, v84
	v_mov_b32_e32 v83, v91
	v_sub_u16_e32 v1, v116, v1
	ds_write_b64 v79, v[96:97] offset:2160
	ds_write2_b64 v63, v[80:81], v[82:83] offset1:135
	v_lshlrev_b16_e32 v80, 4, v1
	v_mov_b32_e32 v81, v177
	v_mov_b32_e32 v91, v85
	v_lshrrev_b16_e32 v0, 8, v0
	v_lshl_add_u64 v[80:81], s[10:11], 0, v[80:81]
	ds_write_b64 v63, v[90:91] offset:2160
	s_waitcnt lgkmcnt(0)
	s_barrier
	v_mul_lo_u16_e32 v2, 0x195, v0
	global_load_dwordx4 v[80:83], v[80:81], off offset:3200
	v_sub_u16_e32 v2, v108, v2
	v_lshlrev_b16_e32 v84, 4, v2
	v_mov_b32_e32 v85, v177
	v_lshlrev_b32_e32 v94, 4, v134
	v_mov_b32_e32 v95, v177
	v_lshl_add_u64 v[84:85], s[10:11], 0, v[84:85]
	global_load_dwordx4 v[84:87], v[84:85], off offset:3200
	v_lshl_add_u64 v[112:113], s[10:11], 0, v[94:95]
	v_add_co_u32_e32 v88, vcc, s7, v112
	s_movk_i32 s7, 0xa2
	s_nop 0
	v_addc_co_u32_e32 v89, vcc, 0, v113, vcc
	global_load_dwordx4 v[88:91], v[88:89], off offset:400
	v_lshl_add_u64 v[96:97], v[134:135], 0, s[14:15]
	v_cmp_gt_u16_e32 vcc, s7, v134
	ds_read2_b64 v[100:103], v171 offset0:8 offset1:251
	s_movk_i32 s7, 0xa1
	v_cndmask_b32_e32 v115, v97, v93, vcc
	v_cndmask_b32_e32 v114, v96, v92, vcc
	v_lshl_add_u64 v[96:97], v[114:115], 4, s[10:11]
	global_load_dwordx4 v[96:99], v[96:97], off offset:3200
	v_mov_b32_e32 v3, 0x4bf
	v_cmp_lt_u16_e32 vcc, s7, v134
	s_movk_i32 s7, 0x4bf
	v_mad_legacy_u16 v0, v0, s7, v2
	v_cndmask_b32_e32 v3, 0, v3, vcc
	v_lshlrev_b32_e32 v92, 4, v92
	v_mov_b32_e32 v93, v177
	v_mov_b32_e32 v111, v177
	v_lshl_add_u64 v[110:111], s[10:11], 0, v[110:111]
	v_lshlrev_b32_e32 v108, 4, v108
	v_mov_b32_e32 v109, v177
	v_lshl_add_u64 v[108:109], s[10:11], 0, v[108:109]
	v_lshlrev_b32_e32 v116, 4, v116
	v_mov_b32_e32 v117, v177
	v_lshl_add_u64 v[116:117], s[10:11], 0, v[116:117]
	s_waitcnt vmcnt(3) lgkmcnt(0)
	v_pk_mul_f32 v[104:105], v[102:103], v[80:81] op_sel:[0,1]
	s_nop 0
	v_pk_fma_f32 v[118:119], v[102:103], v[80:81], v[104:105] op_sel:[0,0,1] op_sel_hi:[1,1,0] neg_lo:[0,0,1] neg_hi:[0,0,1]
	v_pk_fma_f32 v[198:199], v[102:103], v[80:81], v[104:105] op_sel:[0,0,1] op_sel_hi:[1,0,0]
	ds_read2_b64 v[102:105], v167 offset0:4 offset1:247
	v_mov_b32_e32 v119, v199
	s_waitcnt vmcnt(2)
	v_pk_mul_f32 v[106:107], v[100:101], v[84:85] op_sel:[0,1]
	s_nop 0
	v_pk_fma_f32 v[200:201], v[100:101], v[84:85], v[106:107] op_sel:[0,0,1] op_sel_hi:[1,0,0]
	v_mov_b32_e32 v204, v87
	v_pk_fma_f32 v[206:207], v[100:101], v[84:85], v[106:107] op_sel:[0,0,1] op_sel_hi:[1,1,0] neg_lo:[0,0,1] neg_hi:[0,0,1]
	s_waitcnt lgkmcnt(0)
	v_pk_mul_f32 v[100:101], v[104:105], v[204:205] op_sel_hi:[1,0]
	v_mov_b32_e32 v207, v201
	v_pk_fma_f32 v[208:209], v[104:105], v[86:87], v[100:101] op_sel:[0,0,1] op_sel_hi:[1,1,0] neg_lo:[0,0,1] neg_hi:[0,0,1]
	s_waitcnt vmcnt(1)
	v_mov_b32_e32 v200, v91
	v_pk_fma_f32 v[202:203], v[104:105], v[86:87], v[100:101] op_sel:[0,0,1] op_sel_hi:[1,0,0]
	v_pk_mul_f32 v[100:101], v[102:103], v[200:201] op_sel_hi:[1,0]
	v_add_lshl_u32 v87, v114, v3, 3
	v_pk_fma_f32 v[214:215], v[102:103], v[90:91], v[100:101] op_sel:[0,0,1] op_sel_hi:[1,1,0] neg_lo:[0,0,1] neg_hi:[0,0,1]
	v_pk_fma_f32 v[212:213], v[102:103], v[90:91], v[100:101] op_sel:[0,0,1] op_sel_hi:[1,0,0]
	ds_read2_b64 v[100:103], v169 offset0:2 offset1:245
	v_mov_b32_e32 v212, v83
	s_waitcnt vmcnt(0)
	v_mov_b32_e32 v202, v99
	v_mov_b32_e32 v209, v203
	v_pk_add_f32 v[234:235], v[206:207], v[208:209]
	s_waitcnt lgkmcnt(0)
	v_pk_mul_f32 v[104:105], v[102:103], v[88:89] op_sel:[0,1]
	v_pk_add_f32 v[236:237], v[206:207], v[208:209] neg_lo:[0,1] neg_hi:[0,1]
	v_pk_fma_f32 v[216:217], v[102:103], v[88:89], v[104:105] op_sel:[0,0,1] op_sel_hi:[1,1,0] neg_lo:[0,0,1] neg_hi:[0,0,1]
	v_pk_fma_f32 v[218:219], v[102:103], v[88:89], v[104:105] op_sel:[0,0,1] op_sel_hi:[1,0,0]
	v_pk_mul_f32 v[102:103], v[100:101], v[96:97] op_sel:[0,1]
	ds_read2_b64 v[104:107], v163 offset0:6 offset1:249
	v_pk_fma_f32 v[220:221], v[100:101], v[96:97], v[102:103] op_sel:[0,0,1] op_sel_hi:[1,1,0] neg_lo:[0,0,1] neg_hi:[0,0,1]
	v_pk_fma_f32 v[222:223], v[100:101], v[96:97], v[102:103] op_sel:[0,0,1] op_sel_hi:[1,0,0]
	global_load_dwordx4 v[100:103], v94, s[10:11] offset:3200
	v_mov_b32_e32 v217, v219
	v_mov_b32_e32 v215, v213
	v_pk_mul_f32 v[236:237], v[236:237], s[2:3] op_sel_hi:[1,0]
	v_pk_add_f32 v[218:219], v[216:217], v[214:215]
	v_mov_b32_e32 v221, v223
	v_lshlrev_b32_e32 v91, 3, v0
	s_waitcnt vmcnt(0)
	v_mov_b32_e32 v198, v103
	s_waitcnt lgkmcnt(0)
	v_pk_mul_f32 v[94:95], v[104:105], v[198:199] op_sel_hi:[1,0]
	s_nop 0
	v_pk_fma_f32 v[224:225], v[104:105], v[102:103], v[94:95] op_sel:[0,0,1] op_sel_hi:[1,1,0] neg_lo:[0,0,1] neg_hi:[0,0,1]
	v_pk_fma_f32 v[94:95], v[104:105], v[102:103], v[94:95] op_sel:[0,0,1] op_sel_hi:[1,0,0]
	v_pk_mul_f32 v[104:105], v[106:107], v[202:203] op_sel_hi:[1,0]
	v_mov_b32_e32 v225, v95
	v_pk_fma_f32 v[226:227], v[106:107], v[98:99], v[104:105] op_sel:[0,0,1] op_sel_hi:[1,1,0] neg_lo:[0,0,1] neg_hi:[0,0,1]
	v_pk_fma_f32 v[228:229], v[106:107], v[98:99], v[104:105] op_sel:[0,0,1] op_sel_hi:[1,0,0]
	ds_read2_b64 v[104:107], v165 offset0:12 offset1:255
	ds_read_b64 v[94:95], v176 offset:27216
	v_mov_b32_e32 v227, v229
	v_pk_add_f32 v[228:229], v[220:221], v[226:227]
	s_waitcnt lgkmcnt(1)
	v_pk_mul_f32 v[230:231], v[106:107], v[100:101] op_sel:[0,1]
	s_nop 0
	v_pk_fma_f32 v[232:233], v[106:107], v[100:101], v[230:231] op_sel:[0,0,1] op_sel_hi:[1,1,0] neg_lo:[0,0,1] neg_hi:[0,0,1]
	v_pk_fma_f32 v[106:107], v[106:107], v[100:101], v[230:231] op_sel:[0,0,1] op_sel_hi:[1,0,0]
	v_pk_add_f32 v[230:231], v[104:105], v[118:119]
	v_mov_b32_e32 v233, v107
	s_waitcnt lgkmcnt(0)
	v_pk_mul_f32 v[106:107], v[94:95], v[212:213] op_sel_hi:[1,0]
	v_pk_add_f32 v[222:223], v[232:233], v[224:225]
	v_pk_fma_f32 v[114:115], v[94:95], v[82:83], v[106:107] op_sel:[0,0,1] op_sel_hi:[1,1,0] neg_lo:[0,0,1] neg_hi:[0,0,1]
	v_pk_fma_f32 v[94:95], v[94:95], v[82:83], v[106:107] op_sel:[0,0,1] op_sel_hi:[1,0,0]
	v_lshlrev_b32_e32 v83, 3, v1
	v_mov_b32_e32 v115, v95
	v_pk_add_f32 v[94:95], v[118:119], v[114:115]
	s_nop 0
	v_pk_fma_f32 v[94:95], v[94:95], 0.5, v[104:105] op_sel_hi:[1,0,1] neg_lo:[1,0,0] neg_hi:[1,0,0]
	v_pk_add_f32 v[104:105], v[118:119], v[114:115] neg_lo:[0,1] neg_hi:[0,1]
	s_nop 0
	v_pk_mul_f32 v[104:105], v[104:105], s[2:3] op_sel_hi:[1,0]
	s_nop 0
	v_pk_add_f32 v[118:119], v[94:95], v[104:105] op_sel:[0,1] op_sel_hi:[1,0] neg_lo:[0,1] neg_hi:[0,1]
	v_pk_add_f32 v[94:95], v[94:95], v[104:105] op_sel:[0,1] op_sel_hi:[1,0]
	ds_read2_b64 v[104:107], v173 offset0:6 offset1:249
	s_waitcnt lgkmcnt(0)
	v_pk_fma_f32 v[234:235], v[234:235], 0.5, v[106:107] op_sel_hi:[1,0,1] neg_lo:[1,0,0] neg_hi:[1,0,0]
	s_nop 0
	v_pk_add_f32 v[238:239], v[234:235], v[236:237] op_sel:[0,1] op_sel_hi:[1,0] neg_lo:[0,1] neg_hi:[0,1]
	v_pk_add_f32 v[234:235], v[234:235], v[236:237] op_sel:[0,1] op_sel_hi:[1,0]
	v_pk_fma_f32 v[218:219], v[218:219], 0.5, v[104:105] op_sel_hi:[1,0,1] neg_lo:[1,0,0] neg_hi:[1,0,0]
	v_pk_add_f32 v[236:237], v[104:105], v[216:217]
	v_pk_add_f32 v[104:105], v[216:217], v[214:215] neg_lo:[0,1] neg_hi:[0,1]
	v_pk_add_f32 v[206:207], v[106:107], v[206:207]
	v_pk_mul_f32 v[104:105], v[104:105], s[2:3] op_sel_hi:[1,0]
	s_nop 0
	v_pk_add_f32 v[216:217], v[218:219], v[104:105] op_sel:[0,1] op_sel_hi:[1,0] neg_lo:[0,1] neg_hi:[0,1]
	v_pk_add_f32 v[218:219], v[218:219], v[104:105] op_sel:[0,1] op_sel_hi:[1,0]
	ds_read2_b64 v[104:107], v176 offset1:243
	s_waitcnt lgkmcnt(0)
	s_barrier
	v_pk_fma_f32 v[222:223], v[222:223], 0.5, v[104:105] op_sel_hi:[1,0,1] neg_lo:[1,0,0] neg_hi:[1,0,0]
	v_pk_add_f32 v[104:105], v[104:105], v[232:233]
	v_pk_fma_f32 v[228:229], v[228:229], 0.5, v[106:107] op_sel_hi:[1,0,1] neg_lo:[1,0,0] neg_hi:[1,0,0]
	v_pk_add_f32 v[104:105], v[104:105], v[224:225]
	ds_write_b64 v176, v[104:105]
	v_pk_add_f32 v[104:105], v[232:233], v[224:225] neg_lo:[0,1] neg_hi:[0,1]
	v_pk_add_f32 v[106:107], v[106:107], v[220:221]
	v_pk_mul_f32 v[104:105], v[104:105], s[2:3] op_sel_hi:[1,0]
	s_nop 0
	v_pk_add_f32 v[224:225], v[222:223], v[104:105] op_sel:[0,1] op_sel_hi:[1,0] neg_lo:[0,1] neg_hi:[0,1]
	v_pk_add_f32 v[104:105], v[222:223], v[104:105] op_sel:[0,1] op_sel_hi:[1,0]
	v_mov_b32_e32 v223, v225
	v_mov_b32_e32 v222, v104
	;; [unrolled: 1-line block ×3, first 2 shown]
	v_pk_add_f32 v[104:105], v[106:107], v[226:227]
	ds_write_b64 v176, v[222:223] offset:3240
	ds_write_b64 v176, v[224:225] offset:6480
	ds_write_b64 v87, v[104:105]
	v_pk_add_f32 v[104:105], v[220:221], v[226:227] neg_lo:[0,1] neg_hi:[0,1]
	s_nop 0
	v_pk_mul_f32 v[104:105], v[104:105], s[2:3] op_sel_hi:[1,0]
	s_nop 0
	v_pk_add_f32 v[106:107], v[228:229], v[104:105] op_sel:[0,1] op_sel_hi:[1,0]
	v_pk_add_f32 v[104:105], v[228:229], v[104:105] op_sel:[0,1] op_sel_hi:[1,0] neg_lo:[0,1] neg_hi:[0,1]
	v_mov_b32_e32 v220, v106
	v_mov_b32_e32 v221, v105
	;; [unrolled: 1-line block ×3, first 2 shown]
	ds_write_b64 v87, v[104:105] offset:6480
	v_pk_add_f32 v[104:105], v[236:237], v[214:215]
	ds_write_b64 v87, v[220:221] offset:3240
	ds_write_b64 v176, v[104:105] offset:10368
	v_mov_b32_e32 v104, v218
	v_mov_b32_e32 v105, v217
	ds_write_b64 v176, v[104:105] offset:13608
	v_mov_b32_e32 v217, v219
	v_pk_add_f32 v[104:105], v[206:207], v[208:209]
	ds_write_b64 v176, v[216:217] offset:16848
	ds_write_b64 v91, v[104:105]
	v_mov_b32_e32 v104, v234
	v_mov_b32_e32 v105, v239
	ds_write_b64 v91, v[104:105] offset:3240
	v_mov_b32_e32 v239, v235
	v_pk_add_f32 v[104:105], v[230:231], v[114:115]
	ds_write_b64 v91, v[238:239] offset:6480
	ds_write_b64 v83, v[104:105] offset:19440
	v_mov_b32_e32 v104, v94
	v_add_co_u32_e32 v94, vcc, s3, v112
	v_mov_b32_e32 v105, v119
	v_mov_b32_e32 v119, v95
	v_addc_co_u32_e32 v95, vcc, 0, v113, vcc
	ds_write_b64 v83, v[104:105] offset:22680
	ds_write_b64 v83, v[118:119] offset:25920
	v_lshl_add_u64 v[104:105], s[10:11], 0, v[92:93]
	s_waitcnt lgkmcnt(0)
	s_barrier
	global_load_dwordx4 v[92:95], v[94:95], off offset:1488
	v_add_co_u32_e32 v104, vcc, s3, v104
	ds_read2_b64 v[112:115], v163 offset0:6 offset1:249
	s_nop 0
	v_addc_co_u32_e32 v105, vcc, 0, v105, vcc
	global_load_dwordx4 v[104:107], v[104:105], off offset:1488
	ds_read2_b64 v[214:217], v169 offset0:2 offset1:245
	v_add_co_u32_e32 v110, vcc, s3, v110
	s_mov_b64 s[10:11], 0x71e8
	s_nop 0
	v_addc_co_u32_e32 v111, vcc, 0, v111, vcc
	s_waitcnt vmcnt(1)
	v_mov_b32_e32 v206, v95
	s_waitcnt lgkmcnt(1)
	v_pk_mul_f32 v[118:119], v[112:113], v[206:207] op_sel_hi:[1,0]
	s_nop 0
	v_pk_fma_f32 v[208:209], v[112:113], v[94:95], v[118:119] op_sel:[0,0,1] op_sel_hi:[1,0,0]
	v_pk_fma_f32 v[226:227], v[112:113], v[94:95], v[118:119] op_sel:[0,0,1] op_sel_hi:[1,1,0] neg_lo:[0,0,1] neg_hi:[0,0,1]
	v_add_u32_e32 v95, 0x5380, v176
	s_waitcnt vmcnt(0)
	v_mov_b32_e32 v208, v107
	v_pk_mul_f32 v[112:113], v[114:115], v[208:209] op_sel_hi:[1,0]
	v_mov_b32_e32 v227, v209
	v_pk_fma_f32 v[230:231], v[114:115], v[106:107], v[112:113] op_sel:[0,0,1] op_sel_hi:[1,1,0] neg_lo:[0,0,1] neg_hi:[0,0,1]
	v_pk_fma_f32 v[224:225], v[114:115], v[106:107], v[112:113] op_sel:[0,0,1] op_sel_hi:[1,0,0]
	v_add_co_u32_e32 v112, vcc, s3, v108
	v_mov_b32_e32 v231, v225
	s_nop 0
	v_addc_co_u32_e32 v113, vcc, 0, v109, vcc
	s_waitcnt lgkmcnt(0)
	v_pk_mul_f32 v[108:109], v[214:215], v[104:105] op_sel:[0,1]
	v_add_co_u32_e32 v116, vcc, s3, v116
	v_pk_fma_f32 v[232:233], v[214:215], v[104:105], v[108:109] op_sel:[0,0,1] op_sel_hi:[1,1,0] neg_lo:[0,0,1] neg_hi:[0,0,1]
	v_pk_fma_f32 v[214:215], v[214:215], v[104:105], v[108:109] op_sel:[0,0,1] op_sel_hi:[1,0,0]
	global_load_dwordx4 v[108:111], v[110:111], off offset:1488
	s_nop 0
	global_load_dwordx4 v[112:115], v[112:113], off offset:1488
	v_addc_co_u32_e32 v117, vcc, 0, v117, vcc
	v_mov_b32_e32 v233, v215
	s_waitcnt vmcnt(1)
	v_pk_mul_f32 v[118:119], v[216:217], v[108:109] op_sel:[0,1]
	s_nop 0
	v_pk_fma_f32 v[234:235], v[216:217], v[108:109], v[118:119] op_sel:[0,0,1] op_sel_hi:[1,1,0] neg_lo:[0,0,1] neg_hi:[0,0,1]
	v_pk_fma_f32 v[236:237], v[216:217], v[108:109], v[118:119] op_sel:[0,0,1] op_sel_hi:[1,0,0]
	ds_read2_b64 v[216:219], v167 offset0:4 offset1:247
	v_mov_b32_e32 v214, v111
	v_mov_b32_e32 v235, v237
	s_waitcnt lgkmcnt(0)
	v_pk_mul_f32 v[118:119], v[216:217], v[214:215] op_sel_hi:[1,0]
	s_nop 0
	v_pk_fma_f32 v[238:239], v[216:217], v[110:111], v[118:119] op_sel:[0,0,1] op_sel_hi:[1,1,0] neg_lo:[0,0,1] neg_hi:[0,0,1]
	v_pk_fma_f32 v[216:217], v[216:217], v[110:111], v[118:119] op_sel:[0,0,1] op_sel_hi:[1,0,0]
	s_waitcnt vmcnt(0)
	v_mov_b32_e32 v216, v115
	v_pk_mul_f32 v[118:119], v[218:219], v[216:217] op_sel_hi:[1,0]
	v_mov_b32_e32 v239, v217
	v_pk_fma_f32 v[240:241], v[218:219], v[114:115], v[118:119] op_sel:[0,0,1] op_sel_hi:[1,1,0] neg_lo:[0,0,1] neg_hi:[0,0,1]
	v_pk_fma_f32 v[242:243], v[218:219], v[114:115], v[118:119] op_sel:[0,0,1] op_sel_hi:[1,0,0]
	ds_read2_b64 v[218:221], v171 offset0:8 offset1:251
	v_mov_b32_e32 v241, v243
	s_waitcnt lgkmcnt(0)
	v_pk_mul_f32 v[118:119], v[218:219], v[112:113] op_sel:[0,1]
	s_nop 0
	v_pk_fma_f32 v[244:245], v[218:219], v[112:113], v[118:119] op_sel:[0,0,1] op_sel_hi:[1,1,0] neg_lo:[0,0,1] neg_hi:[0,0,1]
	v_pk_fma_f32 v[218:219], v[218:219], v[112:113], v[118:119] op_sel:[0,0,1] op_sel_hi:[1,0,0]
	global_load_dwordx4 v[116:119], v[116:117], off offset:1488
	v_mov_b32_e32 v245, v219
	s_waitcnt vmcnt(0)
	v_pk_mul_f32 v[222:223], v[220:221], v[116:117] op_sel:[0,1]
	s_nop 0
	v_pk_fma_f32 v[246:247], v[220:221], v[116:117], v[222:223] op_sel:[0,0,1] op_sel_hi:[1,1,0] neg_lo:[0,0,1] neg_hi:[0,0,1]
	v_pk_fma_f32 v[248:249], v[220:221], v[116:117], v[222:223] op_sel:[0,0,1] op_sel_hi:[1,0,0]
	ds_read2_b64 v[220:223], v165 offset0:12 offset1:255
	v_mov_b32_e32 v247, v249
	s_waitcnt lgkmcnt(0)
	v_pk_mul_f32 v[228:229], v[222:223], v[92:93] op_sel:[0,1]
	s_nop 0
	v_pk_fma_f32 v[250:251], v[222:223], v[92:93], v[228:229] op_sel:[0,0,1] op_sel_hi:[1,1,0] neg_lo:[0,0,1] neg_hi:[0,0,1]
	v_pk_fma_f32 v[222:223], v[222:223], v[92:93], v[228:229] op_sel:[0,0,1] op_sel_hi:[1,0,0]
	s_nop 0
	v_mov_b32_e32 v251, v223
	ds_read2_b64 v[222:225], v176 offset1:243
	s_waitcnt lgkmcnt(0)
	v_pk_add_f32 v[228:229], v[222:223], v[250:251]
	s_nop 0
	v_pk_add_f32 v[252:253], v[228:229], v[226:227]
	v_pk_add_f32 v[228:229], v[250:251], v[226:227]
	v_pk_add_f32 v[226:227], v[250:251], v[226:227] neg_lo:[0,1] neg_hi:[0,1]
	v_pk_fma_f32 v[222:223], v[228:229], 0.5, v[222:223] op_sel_hi:[1,0,1] neg_lo:[1,0,0] neg_hi:[1,0,0]
	v_pk_mul_f32 v[226:227], v[226:227], s[2:3] op_sel_hi:[1,0]
	s_nop 0
	v_pk_add_f32 v[250:251], v[222:223], v[226:227] op_sel:[0,1] op_sel_hi:[1,0]
	v_pk_add_f32 v[222:223], v[222:223], v[226:227] op_sel:[0,1] op_sel_hi:[1,0] neg_lo:[0,1] neg_hi:[0,1]
	ds_read2_b64 v[226:229], v173 offset0:6 offset1:249
	v_mov_b32_e32 v255, v223
	v_mov_b32_e32 v223, v251
	ds_write_b64 v176, v[222:223] offset:19440
	v_pk_add_f32 v[222:223], v[224:225], v[232:233]
	v_mov_b32_e32 v254, v250
	v_pk_add_f32 v[222:223], v[222:223], v[230:231]
	ds_write_b64 v176, v[254:255] offset:9720
	ds_read_b64 v[250:251], v176 offset:27216
	ds_write2_b64 v176, v[252:253], v[222:223] offset1:243
	v_pk_add_f32 v[222:223], v[232:233], v[230:231]
	s_waitcnt lgkmcnt(4)
	v_pk_add_f32 v[218:219], v[228:229], v[244:245]
	v_pk_fma_f32 v[222:223], v[222:223], 0.5, v[224:225] op_sel_hi:[1,0,1] neg_lo:[1,0,0] neg_hi:[1,0,0]
	v_pk_add_f32 v[224:225], v[232:233], v[230:231] neg_lo:[0,1] neg_hi:[0,1]
	v_pk_add_f32 v[232:233], v[234:235], v[238:239] neg_lo:[0,1] neg_hi:[0,1]
	v_pk_mul_f32 v[224:225], v[224:225], s[2:3] op_sel_hi:[1,0]
	v_pk_mul_f32 v[232:233], v[232:233], s[2:3] op_sel_hi:[1,0]
	v_pk_add_f32 v[230:231], v[222:223], v[224:225] op_sel:[0,1] op_sel_hi:[1,0]
	v_pk_add_f32 v[222:223], v[222:223], v[224:225] op_sel:[0,1] op_sel_hi:[1,0] neg_lo:[0,1] neg_hi:[0,1]
	v_pk_add_f32 v[224:225], v[234:235], v[238:239]
	v_pk_add_f32 v[218:219], v[218:219], v[240:241]
	v_pk_fma_f32 v[224:225], v[224:225], 0.5, v[226:227] op_sel_hi:[1,0,1] neg_lo:[1,0,0] neg_hi:[1,0,0]
	s_nop 0
	v_pk_add_f32 v[236:237], v[224:225], v[232:233] op_sel:[0,1] op_sel_hi:[1,0]
	v_pk_add_f32 v[224:225], v[224:225], v[232:233] op_sel:[0,1] op_sel_hi:[1,0] neg_lo:[0,1] neg_hi:[0,1]
	v_mov_b32_e32 v233, v231
	v_mov_b32_e32 v231, v223
	v_mov_b32_e32 v232, v222
	v_pk_add_f32 v[222:223], v[226:227], v[234:235]
	v_mov_b32_e32 v252, v236
	v_mov_b32_e32 v253, v225
	;; [unrolled: 1-line block ×3, first 2 shown]
	v_pk_add_f32 v[222:223], v[222:223], v[238:239]
	ds_write2_b64 v169, v[230:231], v[252:253] offset0:2 offset1:245
	ds_write2_b64 v95, v[232:233], v[224:225] offset0:1 offset1:244
	;; [unrolled: 1-line block ×3, first 2 shown]
	v_pk_add_f32 v[218:219], v[244:245], v[240:241]
	s_nop 0
	v_pk_fma_f32 v[222:223], v[218:219], 0.5, v[228:229] op_sel_hi:[1,0,1] neg_lo:[1,0,0] neg_hi:[1,0,0]
	v_mov_b32_e32 v218, v119
	s_waitcnt lgkmcnt(4)
	v_pk_mul_f32 v[224:225], v[250:251], v[218:219] op_sel_hi:[1,0]
	v_pk_add_f32 v[228:229], v[244:245], v[240:241] neg_lo:[0,1] neg_hi:[0,1]
	v_pk_fma_f32 v[226:227], v[250:251], v[118:119], v[224:225] op_sel:[0,0,1] op_sel_hi:[1,1,0] neg_lo:[0,0,1] neg_hi:[0,0,1]
	v_pk_fma_f32 v[224:225], v[250:251], v[118:119], v[224:225] op_sel:[0,0,1] op_sel_hi:[1,0,0]
	v_pk_mul_f32 v[228:229], v[228:229], s[2:3] op_sel_hi:[1,0]
	v_mov_b32_e32 v227, v225
	v_pk_add_f32 v[224:225], v[246:247], v[226:227]
	v_pk_add_f32 v[230:231], v[222:223], v[228:229] op_sel:[0,1] op_sel_hi:[1,0]
	v_pk_fma_f32 v[224:225], v[224:225], 0.5, v[220:221] op_sel_hi:[1,0,1] neg_lo:[1,0,0] neg_hi:[1,0,0]
	v_pk_add_f32 v[220:221], v[220:221], v[246:247]
	v_pk_add_f32 v[222:223], v[222:223], v[228:229] op_sel:[0,1] op_sel_hi:[1,0] neg_lo:[0,1] neg_hi:[0,1]
	v_pk_add_f32 v[220:221], v[220:221], v[226:227]
	ds_write_b64 v176, v[220:221] offset:7776
	v_pk_add_f32 v[220:221], v[246:247], v[226:227] neg_lo:[0,1] neg_hi:[0,1]
	v_mov_b32_e32 v229, v223
	v_mov_b32_e32 v223, v231
	v_pk_mul_f32 v[220:221], v[220:221], s[2:3] op_sel_hi:[1,0]
	ds_write_b64 v176, v[222:223] offset:25272
	v_pk_add_f32 v[222:223], v[224:225], v[220:221] op_sel:[0,1] op_sel_hi:[1,0]
	v_pk_add_f32 v[220:221], v[224:225], v[220:221] op_sel:[0,1] op_sel_hi:[1,0] neg_lo:[0,1] neg_hi:[0,1]
	v_mov_b32_e32 v228, v230
	v_mov_b32_e32 v224, v222
	v_mov_b32_e32 v225, v221
	v_mov_b32_e32 v221, v223
	s_movk_i32 s3, 0x7000
	ds_write2_b64 v171, v[228:229], v[224:225] offset0:8 offset1:251
	ds_write_b64 v176, v[220:221] offset:27216
	v_add_co_u32_e32 v220, vcc, s3, v158
	s_waitcnt lgkmcnt(0)
	s_nop 0
	v_addc_co_u32_e32 v221, vcc, 0, v159, vcc
	s_barrier
	global_load_dwordx2 v[224:225], v[220:221], off offset:488
	s_mov_b32 s3, 0x8000
	v_lshl_add_u64 v[228:229], v[158:159], 0, s[10:11]
	global_load_dwordx2 v[230:231], v[228:229], off offset:3888
	v_add_co_u32_e32 v220, vcc, s3, v158
	s_mov_b32 s3, 0x9000
	s_nop 0
	v_addc_co_u32_e32 v221, vcc, 0, v159, vcc
	global_load_dwordx2 v[226:227], v[220:221], off offset:2224
	ds_read2_b64 v[220:223], v176 offset1:243
	s_waitcnt vmcnt(2) lgkmcnt(0)
	v_mul_f32_e32 v0, v221, v225
	v_mul_f32_e32 v233, v220, v225
	v_fma_f32 v232, v220, v224, -v0
	v_fmac_f32_e32 v233, v221, v224
	global_load_dwordx2 v[220:221], v[228:229], off offset:1944
	v_add_co_u32_e32 v228, vcc, s3, v158
	s_mov_b32 s3, 0xb000
	s_nop 0
	v_addc_co_u32_e32 v229, vcc, 0, v159, vcc
	ds_write_b64 v176, v[232:233]
	v_add_co_u32_e32 v232, vcc, s3, v158
	s_mov_b32 s3, 0xa000
	s_nop 0
	v_addc_co_u32_e32 v233, vcc, 0, v159, vcc
	global_load_dwordx2 v[234:235], v[228:229], off offset:3960
	global_load_dwordx2 v[236:237], v[232:233], off offset:1600
	global_load_dwordx2 v[238:239], v[228:229], off offset:2016
	s_waitcnt vmcnt(3)
	v_mul_f32_e32 v0, v223, v221
	v_mul_f32_e32 v225, v222, v221
	v_fma_f32 v224, v222, v220, -v0
	v_fmac_f32_e32 v225, v223, v220
	ds_read2_b64 v[220:223], v169 offset0:2 offset1:245
	s_waitcnt vmcnt(2) lgkmcnt(0)
	v_mul_f32_e32 v0, v221, v235
	v_mul_f32_e32 v241, v220, v235
	v_fma_f32 v240, v220, v234, -v0
	v_fmac_f32_e32 v241, v221, v234
	v_add_co_u32_e32 v234, vcc, s3, v158
	s_mov_b32 s3, 0xc000
	s_nop 0
	v_addc_co_u32_e32 v235, vcc, 0, v159, vcc
	v_add_co_u32_e32 v220, vcc, s3, v158
	s_mov_b32 s3, 0xd000
	s_nop 0
	v_addc_co_u32_e32 v221, vcc, 0, v159, vcc
	global_load_dwordx2 v[242:243], v[234:235], off offset:1808
	global_load_dwordx2 v[244:245], v[220:221], off offset:3336
	v_add_co_u32_e32 v158, vcc, s3, v158
	s_waitcnt vmcnt(1)
	v_mul_f32_e32 v0, v223, v243
	v_mul_f32_e32 v247, v222, v243
	v_fma_f32 v246, v222, v242, -v0
	v_fmac_f32_e32 v247, v223, v242
	global_load_dwordx2 v[242:243], v[220:221], off offset:1392
	ds_read2_b64 v[220:223], v167 offset0:4 offset1:247
	v_addc_co_u32_e32 v159, vcc, 0, v159, vcc
	s_waitcnt vmcnt(1) lgkmcnt(0)
	v_mul_f32_e32 v0, v221, v245
	v_mul_f32_e32 v249, v220, v245
	v_fma_f32 v248, v220, v244, -v0
	v_fmac_f32_e32 v249, v221, v244
	global_load_dwordx2 v[220:221], v[158:159], off offset:1184
	s_nop 0
	global_load_dwordx2 v[158:159], v[158:159], off offset:3128
	s_nop 0
	global_load_dwordx2 v[234:235], v[234:235], off offset:3752
	s_waitcnt vmcnt(2)
	v_mul_f32_e32 v0, v223, v221
	global_load_dwordx2 v[228:229], v[228:229], off offset:72
	v_mul_f32_e32 v245, v222, v221
	global_load_dwordx2 v[232:233], v[232:233], off offset:3544
	v_fma_f32 v244, v222, v220, -v0
	v_fmac_f32_e32 v245, v223, v220
	ds_read2_b64 v[220:223], v173 offset0:6 offset1:249
	s_waitcnt lgkmcnt(0)
	v_mul_f32_e32 v0, v223, v227
	v_fma_f32 v250, v222, v226, -v0
	v_mul_f32_e32 v251, v222, v227
	v_mul_f32_e32 v0, v221, v231
	;; [unrolled: 1-line block ×3, first 2 shown]
	v_fmac_f32_e32 v251, v223, v226
	v_fma_f32 v226, v220, v230, -v0
	v_fmac_f32_e32 v227, v221, v230
	ds_read2_b64 v[220:223], v165 offset0:12 offset1:255
	s_waitcnt vmcnt(1) lgkmcnt(0)
	v_mul_f32_e32 v0, v221, v229
	v_fma_f32 v230, v220, v228, -v0
	v_mul_f32_e32 v231, v220, v229
	v_mul_f32_e32 v0, v223, v239
	;; [unrolled: 1-line block ×3, first 2 shown]
	v_fmac_f32_e32 v231, v221, v228
	v_fma_f32 v228, v222, v238, -v0
	v_fmac_f32_e32 v229, v223, v238
	ds_read2_b64 v[220:223], v171 offset0:8 offset1:251
	s_waitcnt lgkmcnt(0)
	v_mul_f32_e32 v0, v223, v237
	v_fma_f32 v238, v222, v236, -v0
	v_mul_f32_e32 v239, v222, v237
	v_mul_f32_e32 v0, v221, v235
	;; [unrolled: 1-line block ×3, first 2 shown]
	v_fmac_f32_e32 v239, v223, v236
	v_fma_f32 v236, v220, v234, -v0
	v_fmac_f32_e32 v237, v221, v234
	ds_read2_b64 v[220:223], v163 offset0:6 offset1:249
	s_waitcnt vmcnt(0) lgkmcnt(0)
	v_mul_f32_e32 v0, v221, v233
	v_fma_f32 v234, v220, v232, -v0
	v_mul_f32_e32 v0, v223, v243
	v_mul_f32_e32 v235, v220, v233
	v_fma_f32 v220, v222, v242, -v0
	v_add_u32_e32 v0, 0x1680, v176
	v_fmac_f32_e32 v235, v221, v232
	ds_write2_b64 v0, v[250:251], v[230:231] offset0:9 offset1:252
	v_add_u32_e32 v0, 0x4400, v176
	ds_write2_b64 v0, v[238:239], v[234:235] offset0:11 offset1:254
	v_add_u32_e32 v0, 0x780, v176
	;; [unrolled: 2-line block ×3, first 2 shown]
	v_mul_f32_e32 v221, v222, v243
	ds_write2_b64 v0, v[228:229], v[240:241] offset0:7 offset1:250
	ds_write2_b64 v120, v[246:247], v[236:237] offset0:5 offset1:248
	v_fmac_f32_e32 v221, v223, v242
	ds_read_b64 v[222:223], v176 offset:27216
	s_waitcnt lgkmcnt(0)
	v_mul_f32_e32 v0, v223, v159
	v_mul_f32_e32 v225, v222, v159
	v_fma_f32 v224, v222, v158, -v0
	v_fmac_f32_e32 v225, v223, v158
	ds_write2_b64 v179, v[244:245], v[224:225] offset0:7 offset1:250
	ds_write2_b64 v95, v[220:221], v[248:249] offset0:1 offset1:244
	s_waitcnt lgkmcnt(0)
	s_barrier
	ds_read2_b64 v[220:223], v169 offset0:2 offset1:245
	ds_read2_b64 v[224:227], v173 offset0:6 offset1:249
	ds_read2_b64 v[228:231], v167 offset0:4 offset1:247
	ds_read2_b64 v[232:235], v171 offset0:8 offset1:251
	s_waitcnt lgkmcnt(2)
	v_pk_add_f32 v[158:159], v[226:227], v[220:221] neg_lo:[0,1] neg_hi:[0,1]
	s_waitcnt lgkmcnt(0)
	v_pk_add_f32 v[236:237], v[228:229], v[234:235] neg_lo:[0,1] neg_hi:[0,1]
	v_pk_add_f32 v[240:241], v[220:221], v[234:235]
	v_pk_add_f32 v[158:159], v[158:159], v[236:237]
	ds_read2_b64 v[236:239], v176 offset1:243
	v_pk_add_f32 v[248:249], v[226:227], v[228:229] neg_lo:[0,1] neg_hi:[0,1]
	v_pk_add_f32 v[250:251], v[220:221], v[234:235] neg_lo:[0,1] neg_hi:[0,1]
	v_pk_mul_f32 v[242:243], v[248:249], s[6:7] op_sel_hi:[1,0]
	s_waitcnt lgkmcnt(0)
	v_pk_fma_f32 v[240:241], v[240:241], 0.5, v[236:237] op_sel_hi:[1,0,1] neg_lo:[1,0,0] neg_hi:[1,0,0]
	s_nop 0
	v_pk_add_f32 v[244:245], v[240:241], v[242:243] op_sel:[0,1] op_sel_hi:[1,0] neg_lo:[0,1] neg_hi:[0,1]
	v_pk_add_f32 v[240:241], v[240:241], v[242:243] op_sel:[0,1] op_sel_hi:[1,0]
	v_pk_mul_f32 v[242:243], v[250:251], s[12:13] op_sel_hi:[1,0]
	s_nop 0
	v_pk_add_f32 v[252:253], v[240:241], v[242:243] op_sel:[0,1] op_sel_hi:[1,0]
	v_pk_add_f32 v[240:241], v[236:237], v[226:227]
	v_pk_add_f32 v[2:3], v[244:245], v[242:243] op_sel:[0,1] op_sel_hi:[1,0] neg_lo:[0,1] neg_hi:[0,1]
	v_pk_add_f32 v[240:241], v[240:241], v[220:221]
	v_mov_b32_e32 v254, v2
	v_pk_add_f32 v[240:241], v[240:241], v[234:235]
	v_mov_b32_e32 v255, v253
	v_pk_add_f32 v[0:1], v[240:241], v[228:229]
	v_pk_fma_f32 v[254:255], v[158:159], s[8:9], v[254:255] op_sel_hi:[1,0,1]
	ds_read_b64 v[120:121], v176 offset:27216
	ds_read2_b64 v[240:243], v165 offset0:12 offset1:255
	ds_read2_b64 v[244:247], v163 offset0:6 offset1:249
	s_waitcnt lgkmcnt(0)
	s_barrier
	ds_write2_b64 v185, v[0:1], v[254:255] offset1:1
	v_pk_add_f32 v[0:1], v[220:221], v[226:227] neg_lo:[0,1] neg_hi:[0,1]
	v_pk_add_f32 v[220:221], v[234:235], v[228:229] neg_lo:[0,1] neg_hi:[0,1]
	v_mov_b32_e32 v253, v3
	v_pk_add_f32 v[0:1], v[0:1], v[220:221]
	v_pk_add_f32 v[220:221], v[226:227], v[228:229]
	v_pk_mul_f32 v[226:227], v[250:251], s[6:7] op_sel_hi:[1,0]
	v_pk_fma_f32 v[220:221], v[220:221], 0.5, v[236:237] op_sel_hi:[1,0,1] neg_lo:[1,0,0] neg_hi:[1,0,0]
	v_pk_add_f32 v[2:3], v[240:241], v[230:231]
	v_pk_add_f32 v[228:229], v[220:221], v[226:227] op_sel:[0,1] op_sel_hi:[1,0]
	v_pk_add_f32 v[220:221], v[220:221], v[226:227] op_sel:[0,1] op_sel_hi:[1,0] neg_lo:[0,1] neg_hi:[0,1]
	v_pk_mul_f32 v[226:227], v[248:249], s[12:13] op_sel_hi:[1,0]
	v_pk_fma_f32 v[2:3], v[2:3], 0.5, v[238:239] op_sel_hi:[1,0,1] neg_lo:[1,0,0] neg_hi:[1,0,0]
	v_pk_add_f32 v[220:221], v[220:221], v[226:227] op_sel:[0,1] op_sel_hi:[1,0]
	v_pk_add_f32 v[226:227], v[228:229], v[226:227] op_sel:[0,1] op_sel_hi:[1,0] neg_lo:[0,1] neg_hi:[0,1]
	v_mov_b32_e32 v229, v221
	v_mov_b32_e32 v228, v226
	;; [unrolled: 1-line block ×3, first 2 shown]
	v_pk_fma_f32 v[226:227], v[0:1], s[8:9], v[228:229] op_sel_hi:[1,0,1]
	v_pk_fma_f32 v[0:1], v[0:1], s[8:9], v[220:221] op_sel_hi:[1,0,1]
	ds_write2_b64 v185, v[226:227], v[0:1] offset0:2 offset1:3
	v_pk_fma_f32 v[0:1], v[158:159], s[8:9], v[252:253] op_sel_hi:[1,0,1]
	v_pk_add_f32 v[220:221], v[240:241], v[222:223] neg_lo:[0,1] neg_hi:[0,1]
	v_pk_add_f32 v[226:227], v[230:231], v[244:245] neg_lo:[0,1] neg_hi:[0,1]
	ds_write_b64 v185, v[0:1] offset:32
	v_pk_add_f32 v[0:1], v[222:223], v[244:245]
	v_pk_add_f32 v[220:221], v[220:221], v[226:227]
	v_pk_add_f32 v[226:227], v[240:241], v[230:231] neg_lo:[0,1] neg_hi:[0,1]
	v_pk_fma_f32 v[0:1], v[0:1], 0.5, v[238:239] op_sel_hi:[1,0,1] neg_lo:[1,0,0] neg_hi:[1,0,0]
	v_pk_mul_f32 v[228:229], v[226:227], s[6:7] op_sel_hi:[1,0]
	v_pk_add_f32 v[158:159], v[238:239], v[240:241]
	v_pk_add_f32 v[234:235], v[0:1], v[228:229] op_sel:[0,1] op_sel_hi:[1,0] neg_lo:[0,1] neg_hi:[0,1]
	v_pk_add_f32 v[0:1], v[0:1], v[228:229] op_sel:[0,1] op_sel_hi:[1,0]
	v_pk_add_f32 v[228:229], v[222:223], v[244:245] neg_lo:[0,1] neg_hi:[0,1]
	v_pk_add_f32 v[158:159], v[158:159], v[222:223]
	v_pk_mul_f32 v[236:237], v[228:229], s[12:13] op_sel_hi:[1,0]
	v_pk_add_f32 v[158:159], v[158:159], v[244:245]
	v_pk_add_f32 v[0:1], v[0:1], v[236:237] op_sel:[0,1] op_sel_hi:[1,0]
	v_pk_add_f32 v[234:235], v[234:235], v[236:237] op_sel:[0,1] op_sel_hi:[1,0] neg_lo:[0,1] neg_hi:[0,1]
	v_mov_b32_e32 v237, v1
	v_mov_b32_e32 v236, v234
	v_pk_add_f32 v[158:159], v[158:159], v[230:231]
	v_pk_fma_f32 v[236:237], v[220:221], s[8:9], v[236:237] op_sel_hi:[1,0,1]
	ds_write2_b64 v181, v[158:159], v[236:237] offset1:1
	v_pk_add_f32 v[158:159], v[222:223], v[240:241] neg_lo:[0,1] neg_hi:[0,1]
	v_pk_add_f32 v[222:223], v[244:245], v[230:231] neg_lo:[0,1] neg_hi:[0,1]
	v_mov_b32_e32 v1, v235
	v_pk_add_f32 v[158:159], v[158:159], v[222:223]
	v_pk_mul_f32 v[222:223], v[228:229], s[6:7] op_sel_hi:[1,0]
	v_pk_fma_f32 v[0:1], v[220:221], s[8:9], v[0:1] op_sel_hi:[1,0,1]
	v_pk_add_f32 v[228:229], v[2:3], v[222:223] op_sel:[0,1] op_sel_hi:[1,0]
	v_pk_add_f32 v[2:3], v[2:3], v[222:223] op_sel:[0,1] op_sel_hi:[1,0] neg_lo:[0,1] neg_hi:[0,1]
	v_pk_mul_f32 v[222:223], v[226:227], s[12:13] op_sel_hi:[1,0]
	ds_write_b64 v181, v[0:1] offset:32
	v_pk_add_f32 v[2:3], v[2:3], v[222:223] op_sel:[0,1] op_sel_hi:[1,0]
	v_pk_add_f32 v[222:223], v[228:229], v[222:223] op_sel:[0,1] op_sel_hi:[1,0] neg_lo:[0,1] neg_hi:[0,1]
	v_mov_b32_e32 v227, v3
	v_mov_b32_e32 v226, v222
	;; [unrolled: 1-line block ×3, first 2 shown]
	v_pk_fma_f32 v[222:223], v[158:159], s[8:9], v[226:227] op_sel_hi:[1,0,1]
	v_pk_fma_f32 v[2:3], v[158:159], s[8:9], v[2:3] op_sel_hi:[1,0,1]
	ds_write2_b64 v181, v[222:223], v[2:3] offset0:2 offset1:3
	v_pk_add_f32 v[0:1], v[242:243], v[232:233] neg_lo:[0,1] neg_hi:[0,1]
	v_pk_add_f32 v[2:3], v[120:121], v[246:247] neg_lo:[0,1] neg_hi:[0,1]
	;; [unrolled: 1-line block ×3, first 2 shown]
	v_pk_add_f32 v[0:1], v[0:1], v[2:3]
	v_pk_add_f32 v[2:3], v[232:233], v[246:247]
	v_pk_mul_f32 v[220:221], v[158:159], s[6:7] op_sel_hi:[1,0]
	v_pk_fma_f32 v[2:3], v[2:3], 0.5, v[224:225] op_sel_hi:[1,0,1] neg_lo:[1,0,0] neg_hi:[1,0,0]
	v_pk_mul_f32 v[158:159], v[158:159], s[12:13] op_sel_hi:[1,0]
	v_pk_add_f32 v[222:223], v[2:3], v[220:221] op_sel:[0,1] op_sel_hi:[1,0] neg_lo:[0,1] neg_hi:[0,1]
	v_pk_add_f32 v[2:3], v[2:3], v[220:221] op_sel:[0,1] op_sel_hi:[1,0]
	v_pk_add_f32 v[220:221], v[232:233], v[246:247] neg_lo:[0,1] neg_hi:[0,1]
	s_nop 0
	v_pk_mul_f32 v[226:227], v[220:221], s[12:13] op_sel_hi:[1,0]
	v_pk_mul_f32 v[220:221], v[220:221], s[6:7] op_sel_hi:[1,0]
	v_pk_add_f32 v[2:3], v[2:3], v[226:227] op_sel:[0,1] op_sel_hi:[1,0]
	v_pk_add_f32 v[222:223], v[222:223], v[226:227] op_sel:[0,1] op_sel_hi:[1,0] neg_lo:[0,1] neg_hi:[0,1]
	v_pk_add_f32 v[226:227], v[224:225], v[242:243]
	v_mov_b32_e32 v228, v222
	v_pk_add_f32 v[226:227], v[226:227], v[232:233]
	v_mov_b32_e32 v229, v3
	v_pk_add_f32 v[226:227], v[226:227], v[246:247]
	v_pk_fma_f32 v[228:229], v[0:1], s[8:9], v[228:229] op_sel_hi:[1,0,1]
	v_pk_add_f32 v[226:227], v[226:227], v[120:121]
	ds_write2_b64 v175, v[226:227], v[228:229] offset1:1
	v_pk_add_f32 v[228:229], v[242:243], v[120:121]
	v_pk_add_f32 v[226:227], v[232:233], v[242:243] neg_lo:[0,1] neg_hi:[0,1]
	v_pk_fma_f32 v[224:225], v[228:229], 0.5, v[224:225] op_sel_hi:[1,0,1] neg_lo:[1,0,0] neg_hi:[1,0,0]
	v_pk_add_f32 v[120:121], v[246:247], v[120:121] neg_lo:[0,1] neg_hi:[0,1]
	v_mov_b32_e32 v3, v223
	v_pk_add_f32 v[120:121], v[226:227], v[120:121]
	v_pk_add_f32 v[226:227], v[224:225], v[220:221] op_sel:[0,1] op_sel_hi:[1,0]
	v_pk_add_f32 v[220:221], v[224:225], v[220:221] op_sel:[0,1] op_sel_hi:[1,0] neg_lo:[0,1] neg_hi:[0,1]
	v_pk_fma_f32 v[0:1], v[0:1], s[8:9], v[2:3] op_sel_hi:[1,0,1]
	v_pk_add_f32 v[220:221], v[220:221], v[158:159] op_sel:[0,1] op_sel_hi:[1,0]
	v_pk_add_f32 v[158:159], v[226:227], v[158:159] op_sel:[0,1] op_sel_hi:[1,0] neg_lo:[0,1] neg_hi:[0,1]
	v_mov_b32_e32 v225, v221
	v_mov_b32_e32 v224, v158
	;; [unrolled: 1-line block ×3, first 2 shown]
	v_pk_fma_f32 v[158:159], v[120:121], s[8:9], v[224:225] op_sel_hi:[1,0,1]
	v_pk_fma_f32 v[120:121], v[120:121], s[8:9], v[220:221] op_sel_hi:[1,0,1]
	ds_write2_b64 v175, v[158:159], v[120:121] offset0:2 offset1:3
	ds_write_b64 v175, v[0:1] offset:32
	s_waitcnt lgkmcnt(0)
	s_barrier
	ds_read_b64 v[0:1], v176 offset:27216
	ds_read2_b64 v[220:223], v171 offset0:8 offset1:251
	s_waitcnt lgkmcnt(1)
	v_pk_mul_f32 v[2:3], v[170:171], v[0:1] op_sel_hi:[0,1]
	v_pk_fma_f32 v[120:121], v[6:7], v[0:1], v[2:3] op_sel:[0,0,1] op_sel_hi:[1,1,0]
	v_pk_fma_f32 v[0:1], v[6:7], v[0:1], v[2:3] op_sel:[0,0,1] op_sel_hi:[0,1,0] neg_lo:[0,0,1] neg_hi:[0,0,1]
	s_waitcnt lgkmcnt(0)
	v_pk_mul_f32 v[2:3], v[4:5], v[222:223] op_sel:[1,0]
	v_accvgpr_read_b32 v0, a2
	v_pk_fma_f32 v[158:159], v[4:5], v[222:223], v[2:3] op_sel:[0,0,1] op_sel_hi:[1,1,0]
	v_pk_fma_f32 v[2:3], v[4:5], v[222:223], v[2:3] op_sel:[0,0,1] op_sel_hi:[0,1,0] neg_lo:[0,0,1] neg_hi:[0,0,1]
	v_pk_mul_f32 v[4:5], v[122:123], v[220:221] op_sel:[1,0]
	v_mov_b32_e32 v159, v3
	v_pk_fma_f32 v[230:231], v[122:123], v[220:221], v[4:5] op_sel:[0,0,1] op_sel_hi:[1,1,0]
	v_pk_fma_f32 v[4:5], v[122:123], v[220:221], v[4:5] op_sel:[0,0,1] op_sel_hi:[0,1,0] neg_lo:[0,0,1] neg_hi:[0,0,1]
	ds_read2_b64 v[220:223], v167 offset0:4 offset1:247
	v_mov_b32_e32 v231, v5
	v_mov_b32_e32 v121, v1
	s_waitcnt lgkmcnt(0)
	v_pk_mul_f32 v[122:123], v[166:167], v[222:223] op_sel_hi:[0,1]
	v_pk_fma_f32 v[232:233], v[124:125], v[222:223], v[122:123] op_sel:[0,0,1] op_sel_hi:[1,1,0]
	v_pk_fma_f32 v[122:123], v[124:125], v[222:223], v[122:123] op_sel:[0,0,1] op_sel_hi:[0,1,0] neg_lo:[0,0,1] neg_hi:[0,0,1]
	v_pk_mul_f32 v[222:223], v[164:165], v[220:221] op_sel_hi:[0,1]
	v_pk_fma_f32 v[234:235], v[10:11], v[220:221], v[222:223] op_sel:[0,0,1] op_sel_hi:[1,1,0]
	v_pk_fma_f32 v[236:237], v[10:11], v[220:221], v[222:223] op_sel:[0,0,1] op_sel_hi:[0,1,0] neg_lo:[0,0,1] neg_hi:[0,0,1]
	ds_read2_b64 v[220:223], v169 offset0:2 offset1:245
	v_mov_b32_e32 v235, v237
	v_mov_b32_e32 v233, v123
	v_pk_add_f32 v[4:5], v[230:231], v[232:233]
	s_waitcnt lgkmcnt(0)
	v_pk_mul_f32 v[224:225], v[8:9], v[222:223] op_sel:[1,0]
	s_nop 0
	v_pk_fma_f32 v[238:239], v[8:9], v[222:223], v[224:225] op_sel:[0,0,1] op_sel_hi:[1,1,0]
	v_pk_fma_f32 v[8:9], v[8:9], v[222:223], v[224:225] op_sel:[0,0,1] op_sel_hi:[0,1,0] neg_lo:[0,0,1] neg_hi:[0,0,1]
	v_pk_mul_f32 v[222:223], v[12:13], v[220:221] op_sel:[1,0]
	v_mov_b32_e32 v239, v9
	v_pk_fma_f32 v[240:241], v[12:13], v[220:221], v[222:223] op_sel:[0,0,1] op_sel_hi:[1,1,0]
	v_pk_fma_f32 v[12:13], v[12:13], v[220:221], v[222:223] op_sel:[0,0,1] op_sel_hi:[0,1,0] neg_lo:[0,0,1] neg_hi:[0,0,1]
	ds_read2_b64 v[220:223], v163 offset0:6 offset1:249
	v_mov_b32_e32 v241, v13
	v_pk_add_f32 v[8:9], v[238:239], v[234:235]
	s_waitcnt lgkmcnt(0)
	v_pk_mul_f32 v[224:225], v[0:1], v[222:223] op_sel_hi:[0,1]
	v_pk_fma_f32 v[242:243], v[14:15], v[222:223], v[224:225] op_sel:[0,0,1] op_sel_hi:[1,1,0]
	v_pk_fma_f32 v[244:245], v[14:15], v[222:223], v[224:225] op_sel:[0,0,1] op_sel_hi:[0,1,0] neg_lo:[0,0,1] neg_hi:[0,0,1]
	v_pk_mul_f32 v[222:223], v[162:163], v[220:221] op_sel_hi:[0,1]
	v_pk_fma_f32 v[226:227], v[18:19], v[220:221], v[222:223] op_sel:[0,0,1] op_sel_hi:[1,1,0]
	v_pk_fma_f32 v[224:225], v[18:19], v[220:221], v[222:223] op_sel:[0,0,1] op_sel_hi:[0,1,0] neg_lo:[0,0,1] neg_hi:[0,0,1]
	ds_read2_b64 v[220:223], v165 offset0:12 offset1:255
	v_mov_b32_e32 v227, v225
	v_mov_b32_e32 v243, v245
	v_pk_add_f32 v[12:13], v[240:241], v[242:243]
	v_pk_add_f32 v[0:1], v[158:159], v[120:121]
	s_waitcnt lgkmcnt(0)
	v_pk_mul_f32 v[228:229], v[16:17], v[222:223] op_sel:[1,0]
	v_pk_fma_f32 v[0:1], v[0:1], 0.5, v[220:221] op_sel_hi:[1,0,1] neg_lo:[1,0,0] neg_hi:[1,0,0]
	v_pk_fma_f32 v[246:247], v[16:17], v[222:223], v[228:229] op_sel:[0,0,1] op_sel_hi:[1,1,0]
	v_pk_fma_f32 v[16:17], v[16:17], v[222:223], v[228:229] op_sel:[0,0,1] op_sel_hi:[0,1,0] neg_lo:[0,0,1] neg_hi:[0,0,1]
	ds_read2_b64 v[222:225], v176 offset1:243
	v_mov_b32_e32 v247, v17
	v_pk_add_f32 v[228:229], v[246:247], v[226:227]
	v_pk_add_f32 v[2:3], v[220:221], v[158:159]
	s_waitcnt lgkmcnt(0)
	v_pk_add_f32 v[16:17], v[222:223], v[246:247]
	s_nop 0
	v_pk_add_f32 v[16:17], v[16:17], v[226:227]
	v_pk_add_f32 v[226:227], v[246:247], v[226:227] neg_lo:[0,1] neg_hi:[0,1]
	v_pk_fma_f32 v[222:223], v[228:229], 0.5, v[222:223] op_sel_hi:[1,0,1] neg_lo:[1,0,0] neg_hi:[1,0,0]
	v_pk_mul_f32 v[226:227], v[226:227], s[2:3] op_sel_hi:[1,0]
	v_pk_fma_f32 v[12:13], v[12:13], 0.5, v[224:225] op_sel_hi:[1,0,1] neg_lo:[1,0,0] neg_hi:[1,0,0]
	v_pk_add_f32 v[246:247], v[222:223], v[226:227] op_sel:[0,1] op_sel_hi:[1,0] neg_lo:[0,1] neg_hi:[0,1]
	v_pk_add_f32 v[222:223], v[222:223], v[226:227] op_sel:[0,1] op_sel_hi:[1,0]
	v_mov_b32_e32 v248, v246
	v_mov_b32_e32 v249, v223
	;; [unrolled: 1-line block ×3, first 2 shown]
	ds_read2_b64 v[226:229], v173 offset0:6 offset1:249
	s_waitcnt lgkmcnt(0)
	s_barrier
	ds_write2_b64 v125, v[16:17], v[248:249] offset1:5
	ds_write_b64 v125, v[222:223] offset:80
	v_pk_add_f32 v[124:125], v[240:241], v[242:243] neg_lo:[0,1] neg_hi:[0,1]
	v_pk_add_f32 v[16:17], v[224:225], v[240:241]
	v_pk_mul_f32 v[124:125], v[124:125], s[2:3] op_sel_hi:[1,0]
	v_pk_add_f32 v[16:17], v[16:17], v[242:243]
	v_pk_add_f32 v[222:223], v[12:13], v[124:125] op_sel:[0,1] op_sel_hi:[1,0]
	v_pk_add_f32 v[12:13], v[12:13], v[124:125] op_sel:[0,1] op_sel_hi:[1,0] neg_lo:[0,1] neg_hi:[0,1]
	v_mov_b32_e32 v125, v223
	v_mov_b32_e32 v124, v12
	;; [unrolled: 1-line block ×3, first 2 shown]
	ds_write2_b64 v11, v[16:17], v[124:125] offset1:5
	ds_write_b64 v11, v[222:223] offset:80
	v_pk_add_f32 v[10:11], v[238:239], v[234:235] neg_lo:[0,1] neg_hi:[0,1]
	v_pk_fma_f32 v[8:9], v[8:9], 0.5, v[226:227] op_sel_hi:[1,0,1] neg_lo:[1,0,0] neg_hi:[1,0,0]
	v_pk_mul_f32 v[10:11], v[10:11], s[2:3] op_sel_hi:[1,0]
	v_pk_fma_f32 v[4:5], v[4:5], 0.5, v[228:229] op_sel_hi:[1,0,1] neg_lo:[1,0,0] neg_hi:[1,0,0]
	v_pk_add_f32 v[12:13], v[8:9], v[10:11] op_sel:[0,1] op_sel_hi:[1,0]
	v_pk_add_f32 v[8:9], v[8:9], v[10:11] op_sel:[0,1] op_sel_hi:[1,0] neg_lo:[0,1] neg_hi:[0,1]
	v_pk_add_f32 v[10:11], v[226:227], v[238:239]
	v_mov_b32_e32 v16, v8
	v_pk_add_f32 v[10:11], v[10:11], v[234:235]
	v_mov_b32_e32 v17, v13
	ds_write2_b64 v15, v[10:11], v[16:17] offset1:5
	v_pk_add_f32 v[10:11], v[230:231], v[232:233] neg_lo:[0,1] neg_hi:[0,1]
	v_mov_b32_e32 v13, v9
	v_pk_mul_f32 v[10:11], v[10:11], s[2:3] op_sel_hi:[1,0]
	ds_write_b64 v15, v[12:13] offset:80
	v_pk_add_f32 v[12:13], v[4:5], v[10:11] op_sel:[0,1] op_sel_hi:[1,0]
	v_pk_add_f32 v[4:5], v[4:5], v[10:11] op_sel:[0,1] op_sel_hi:[1,0] neg_lo:[0,1] neg_hi:[0,1]
	v_pk_add_f32 v[8:9], v[228:229], v[230:231]
	v_mov_b32_e32 v10, v4
	v_mov_b32_e32 v11, v13
	;; [unrolled: 1-line block ×3, first 2 shown]
	v_pk_add_f32 v[4:5], v[158:159], v[120:121] neg_lo:[0,1] neg_hi:[0,1]
	v_pk_add_f32 v[8:9], v[8:9], v[232:233]
	v_pk_mul_f32 v[4:5], v[4:5], s[2:3] op_sel_hi:[1,0]
	ds_write2_b64 v19, v[8:9], v[10:11] offset1:5
	v_pk_add_f32 v[8:9], v[0:1], v[4:5] op_sel:[0,1] op_sel_hi:[1,0]
	v_pk_add_f32 v[0:1], v[0:1], v[4:5] op_sel:[0,1] op_sel_hi:[1,0] neg_lo:[0,1] neg_hi:[0,1]
	v_pk_add_f32 v[2:3], v[2:3], v[120:121]
	v_mov_b32_e32 v4, v0
	v_mov_b32_e32 v5, v9
	;; [unrolled: 1-line block ×3, first 2 shown]
	ds_write_b64 v19, v[12:13] offset:80
	ds_write2_b64 v7, v[2:3], v[4:5] offset1:5
	ds_write_b64 v7, v[8:9] offset:80
	s_waitcnt lgkmcnt(0)
	s_barrier
	ds_read_b64 v[4:5], v176 offset:27216
	ds_read2_b64 v[0:3], v171 offset0:8 offset1:251
	s_waitcnt lgkmcnt(1)
	v_pk_mul_f32 v[6:7], v[186:187], v[4:5] op_sel_hi:[0,1]
	v_pk_fma_f32 v[8:9], v[26:27], v[4:5], v[6:7] op_sel:[0,0,1] op_sel_hi:[1,1,0]
	v_pk_fma_f32 v[10:11], v[26:27], v[4:5], v[6:7] op_sel:[0,0,1] op_sel_hi:[0,1,0] neg_lo:[0,0,1] neg_hi:[0,0,1]
	ds_read2_b64 v[4:7], v167 offset0:4 offset1:247
	s_waitcnt lgkmcnt(1)
	v_pk_mul_f32 v[12:13], v[24:25], v[2:3] op_sel:[1,0]
	v_mov_b32_e32 v9, v11
	v_pk_fma_f32 v[14:15], v[24:25], v[2:3], v[12:13] op_sel:[0,0,1] op_sel_hi:[1,1,0]
	v_pk_fma_f32 v[12:13], v[24:25], v[2:3], v[12:13] op_sel:[0,0,1] op_sel_hi:[0,1,0] neg_lo:[0,0,1] neg_hi:[0,0,1]
	v_pk_mul_f32 v[2:3], v[20:21], v[0:1] op_sel:[1,0]
	v_mov_b32_e32 v15, v13
	v_pk_fma_f32 v[16:17], v[20:21], v[0:1], v[2:3] op_sel:[0,0,1] op_sel_hi:[1,1,0]
	v_pk_fma_f32 v[18:19], v[20:21], v[0:1], v[2:3] op_sel:[0,0,1] op_sel_hi:[0,1,0] neg_lo:[0,0,1] neg_hi:[0,0,1]
	v_accvgpr_read_b32 v0, a4
	s_waitcnt lgkmcnt(0)
	v_pk_mul_f32 v[20:21], v[0:1], v[6:7] op_sel_hi:[0,1]
	ds_read2_b64 v[0:3], v169 offset0:2 offset1:245
	v_pk_fma_f32 v[24:25], v[22:23], v[6:7], v[20:21] op_sel:[0,0,1] op_sel_hi:[1,1,0]
	v_pk_fma_f32 v[20:21], v[22:23], v[6:7], v[20:21] op_sel:[0,0,1] op_sel_hi:[0,1,0] neg_lo:[0,0,1] neg_hi:[0,0,1]
	v_pk_mul_f32 v[6:7], v[174:175], v[4:5] op_sel_hi:[0,1]
	v_pk_fma_f32 v[120:121], v[30:31], v[4:5], v[6:7] op_sel:[0,0,1] op_sel_hi:[1,1,0]
	v_pk_fma_f32 v[122:123], v[30:31], v[4:5], v[6:7] op_sel:[0,0,1] op_sel_hi:[0,1,0] neg_lo:[0,0,1] neg_hi:[0,0,1]
	ds_read2_b64 v[4:7], v163 offset0:6 offset1:249
	s_waitcnt lgkmcnt(1)
	v_pk_mul_f32 v[124:125], v[28:29], v[2:3] op_sel:[1,0]
	v_mov_b32_e32 v121, v123
	v_pk_fma_f32 v[158:159], v[28:29], v[2:3], v[124:125] op_sel:[0,0,1] op_sel_hi:[1,1,0]
	v_pk_fma_f32 v[28:29], v[28:29], v[2:3], v[124:125] op_sel:[0,0,1] op_sel_hi:[0,1,0] neg_lo:[0,0,1] neg_hi:[0,0,1]
	v_pk_mul_f32 v[2:3], v[32:33], v[0:1] op_sel:[1,0]
	s_waitcnt lgkmcnt(0)
	v_pk_mul_f32 v[174:175], v[168:169], v[6:7] op_sel_hi:[0,1]
	v_pk_fma_f32 v[124:125], v[32:33], v[0:1], v[2:3] op_sel:[0,0,1] op_sel_hi:[1,1,0]
	v_pk_fma_f32 v[32:33], v[32:33], v[0:1], v[2:3] op_sel:[0,0,1] op_sel_hi:[0,1,0] neg_lo:[0,0,1] neg_hi:[0,0,1]
	ds_read2_b64 v[0:3], v165 offset0:12 offset1:255
	v_pk_fma_f32 v[186:187], v[34:35], v[6:7], v[174:175] op_sel:[0,0,1] op_sel_hi:[1,1,0]
	v_pk_fma_f32 v[174:175], v[34:35], v[6:7], v[174:175] op_sel:[0,0,1] op_sel_hi:[0,1,0] neg_lo:[0,0,1] neg_hi:[0,0,1]
	v_pk_mul_f32 v[6:7], v[172:173], v[4:5] op_sel_hi:[0,1]
	v_pk_fma_f32 v[220:221], v[38:39], v[4:5], v[6:7] op_sel:[0,0,1] op_sel_hi:[1,1,0]
	v_pk_fma_f32 v[222:223], v[38:39], v[4:5], v[6:7] op_sel:[0,0,1] op_sel_hi:[0,1,0] neg_lo:[0,0,1] neg_hi:[0,0,1]
	ds_read2_b64 v[4:7], v176 offset1:243
	s_waitcnt lgkmcnt(1)
	v_pk_mul_f32 v[224:225], v[36:37], v[2:3] op_sel:[1,0]
	v_mov_b32_e32 v221, v223
	v_pk_fma_f32 v[226:227], v[36:37], v[2:3], v[224:225] op_sel:[0,0,1] op_sel_hi:[1,1,0]
	v_pk_fma_f32 v[2:3], v[36:37], v[2:3], v[224:225] op_sel:[0,0,1] op_sel_hi:[0,1,0] neg_lo:[0,0,1] neg_hi:[0,0,1]
	v_mov_b32_e32 v227, v3
	s_waitcnt lgkmcnt(0)
	v_pk_add_f32 v[2:3], v[4:5], v[226:227]
	v_mov_b32_e32 v125, v33
	v_pk_add_f32 v[36:37], v[2:3], v[220:221]
	v_pk_add_f32 v[2:3], v[226:227], v[220:221]
	v_pk_add_f32 v[220:221], v[226:227], v[220:221] neg_lo:[0,1] neg_hi:[0,1]
	v_pk_fma_f32 v[2:3], v[2:3], 0.5, v[4:5] op_sel_hi:[1,0,1] neg_lo:[1,0,0] neg_hi:[1,0,0]
	v_pk_mul_f32 v[4:5], v[220:221], s[2:3] op_sel_hi:[1,0]
	v_mov_b32_e32 v187, v175
	v_pk_add_f32 v[220:221], v[2:3], v[4:5] op_sel:[0,1] op_sel_hi:[1,0] neg_lo:[0,1] neg_hi:[0,1]
	v_pk_add_f32 v[222:223], v[2:3], v[4:5] op_sel:[0,1] op_sel_hi:[1,0]
	v_mov_b32_e32 v224, v220
	v_mov_b32_e32 v225, v223
	v_mov_b32_e32 v223, v221
	ds_read2_b64 v[2:5], v173 offset0:6 offset1:249
	s_waitcnt lgkmcnt(0)
	s_barrier
	ds_write2_b64 v23, v[36:37], v[224:225] offset1:15
	ds_write_b64 v23, v[222:223] offset:240
	v_pk_add_f32 v[22:23], v[124:125], v[186:187]
	v_pk_add_f32 v[32:33], v[124:125], v[186:187] neg_lo:[0,1] neg_hi:[0,1]
	v_pk_fma_f32 v[22:23], v[22:23], 0.5, v[6:7] op_sel_hi:[1,0,1] neg_lo:[1,0,0] neg_hi:[1,0,0]
	v_pk_mul_f32 v[32:33], v[32:33], s[2:3] op_sel_hi:[1,0]
	v_pk_add_f32 v[6:7], v[6:7], v[124:125]
	v_pk_add_f32 v[36:37], v[22:23], v[32:33] op_sel:[0,1] op_sel_hi:[1,0]
	v_pk_add_f32 v[22:23], v[22:23], v[32:33] op_sel:[0,1] op_sel_hi:[1,0] neg_lo:[0,1] neg_hi:[0,1]
	v_pk_add_f32 v[6:7], v[6:7], v[186:187]
	v_mov_b32_e32 v32, v22
	v_mov_b32_e32 v33, v37
	v_mov_b32_e32 v159, v29
	ds_write2_b64 v31, v[6:7], v[32:33] offset1:15
	v_mov_b32_e32 v37, v23
	v_pk_add_f32 v[6:7], v[158:159], v[120:121]
	v_pk_add_f32 v[22:23], v[158:159], v[120:121] neg_lo:[0,1] neg_hi:[0,1]
	v_pk_fma_f32 v[6:7], v[6:7], 0.5, v[2:3] op_sel_hi:[1,0,1] neg_lo:[1,0,0] neg_hi:[1,0,0]
	v_pk_mul_f32 v[22:23], v[22:23], s[2:3] op_sel_hi:[1,0]
	v_pk_add_f32 v[2:3], v[2:3], v[158:159]
	v_pk_add_f32 v[28:29], v[6:7], v[22:23] op_sel:[0,1] op_sel_hi:[1,0]
	v_pk_add_f32 v[6:7], v[6:7], v[22:23] op_sel:[0,1] op_sel_hi:[1,0] neg_lo:[0,1] neg_hi:[0,1]
	v_pk_add_f32 v[2:3], v[2:3], v[120:121]
	v_mov_b32_e32 v22, v6
	v_mov_b32_e32 v23, v29
	;; [unrolled: 1-line block ×4, first 2 shown]
	ds_write_b64 v31, v[36:37] offset:240
	ds_write2_b64 v35, v[2:3], v[22:23] offset1:15
	v_mov_b32_e32 v29, v7
	v_pk_add_f32 v[2:3], v[16:17], v[24:25]
	v_pk_add_f32 v[6:7], v[16:17], v[24:25] neg_lo:[0,1] neg_hi:[0,1]
	v_pk_fma_f32 v[2:3], v[2:3], 0.5, v[4:5] op_sel_hi:[1,0,1] neg_lo:[1,0,0] neg_hi:[1,0,0]
	v_pk_mul_f32 v[6:7], v[6:7], s[2:3] op_sel_hi:[1,0]
	v_pk_add_f32 v[4:5], v[4:5], v[16:17]
	v_pk_add_f32 v[16:17], v[2:3], v[6:7] op_sel:[0,1] op_sel_hi:[1,0]
	v_pk_add_f32 v[2:3], v[2:3], v[6:7] op_sel:[0,1] op_sel_hi:[1,0] neg_lo:[0,1] neg_hi:[0,1]
	v_pk_add_f32 v[4:5], v[4:5], v[24:25]
	v_mov_b32_e32 v6, v2
	v_mov_b32_e32 v7, v17
	ds_write_b64 v35, v[28:29] offset:240
	ds_write2_b64 v39, v[4:5], v[6:7] offset1:15
	v_mov_b32_e32 v17, v3
	v_pk_add_f32 v[2:3], v[14:15], v[8:9]
	v_pk_add_f32 v[4:5], v[14:15], v[8:9] neg_lo:[0,1] neg_hi:[0,1]
	v_pk_fma_f32 v[2:3], v[2:3], 0.5, v[0:1] op_sel_hi:[1,0,1] neg_lo:[1,0,0] neg_hi:[1,0,0]
	v_pk_mul_f32 v[4:5], v[4:5], s[2:3] op_sel_hi:[1,0]
	v_pk_add_f32 v[0:1], v[0:1], v[14:15]
	v_pk_add_f32 v[6:7], v[2:3], v[4:5] op_sel:[0,1] op_sel_hi:[1,0]
	v_pk_add_f32 v[2:3], v[2:3], v[4:5] op_sel:[0,1] op_sel_hi:[1,0] neg_lo:[0,1] neg_hi:[0,1]
	v_pk_add_f32 v[0:1], v[0:1], v[8:9]
	v_mov_b32_e32 v4, v2
	v_mov_b32_e32 v5, v7
	;; [unrolled: 1-line block ×3, first 2 shown]
	ds_write_b64 v39, v[16:17] offset:240
	ds_write2_b64 v27, v[0:1], v[4:5] offset1:15
	ds_write_b64 v27, v[6:7] offset:240
	s_waitcnt lgkmcnt(0)
	s_barrier
	ds_read_b64 v[4:5], v176 offset:27216
	ds_read2_b64 v[0:3], v171 offset0:8 offset1:251
	s_waitcnt lgkmcnt(1)
	v_pk_mul_f32 v[6:7], v[196:197], v[4:5] op_sel_hi:[0,1]
	v_pk_fma_f32 v[8:9], v[42:43], v[4:5], v[6:7] op_sel:[0,0,1] op_sel_hi:[1,1,0]
	v_pk_fma_f32 v[10:11], v[42:43], v[4:5], v[6:7] op_sel:[0,0,1] op_sel_hi:[0,1,0] neg_lo:[0,0,1] neg_hi:[0,0,1]
	ds_read2_b64 v[4:7], v167 offset0:4 offset1:247
	s_waitcnt lgkmcnt(1)
	v_pk_mul_f32 v[12:13], v[40:41], v[2:3] op_sel:[1,0]
	v_mov_b32_e32 v9, v11
	v_pk_fma_f32 v[14:15], v[40:41], v[2:3], v[12:13] op_sel:[0,0,1] op_sel_hi:[1,1,0]
	v_pk_fma_f32 v[12:13], v[40:41], v[2:3], v[12:13] op_sel:[0,0,1] op_sel_hi:[0,1,0] neg_lo:[0,0,1] neg_hi:[0,0,1]
	v_pk_mul_f32 v[2:3], v[48:49], v[0:1] op_sel:[1,0]
	s_waitcnt lgkmcnt(0)
	v_pk_mul_f32 v[20:21], v[184:185], v[6:7] op_sel_hi:[0,1]
	v_pk_fma_f32 v[16:17], v[48:49], v[0:1], v[2:3] op_sel:[0,0,1] op_sel_hi:[1,1,0]
	v_pk_fma_f32 v[18:19], v[48:49], v[0:1], v[2:3] op_sel:[0,0,1] op_sel_hi:[0,1,0] neg_lo:[0,0,1] neg_hi:[0,0,1]
	ds_read2_b64 v[0:3], v169 offset0:2 offset1:245
	v_pk_fma_f32 v[22:23], v[50:51], v[6:7], v[20:21] op_sel:[0,0,1] op_sel_hi:[1,1,0]
	v_pk_fma_f32 v[20:21], v[50:51], v[6:7], v[20:21] op_sel:[0,0,1] op_sel_hi:[0,1,0] neg_lo:[0,0,1] neg_hi:[0,0,1]
	v_pk_mul_f32 v[6:7], v[182:183], v[4:5] op_sel_hi:[0,1]
	v_pk_fma_f32 v[24:25], v[46:47], v[4:5], v[6:7] op_sel:[0,0,1] op_sel_hi:[1,1,0]
	v_pk_fma_f32 v[26:27], v[46:47], v[4:5], v[6:7] op_sel:[0,0,1] op_sel_hi:[0,1,0] neg_lo:[0,0,1] neg_hi:[0,0,1]
	ds_read2_b64 v[4:7], v163 offset0:6 offset1:249
	s_waitcnt lgkmcnt(1)
	v_pk_mul_f32 v[28:29], v[44:45], v[2:3] op_sel:[1,0]
	v_mov_b32_e32 v25, v27
	v_pk_fma_f32 v[30:31], v[44:45], v[2:3], v[28:29] op_sel:[0,0,1] op_sel_hi:[1,1,0]
	v_pk_fma_f32 v[28:29], v[44:45], v[2:3], v[28:29] op_sel:[0,0,1] op_sel_hi:[0,1,0] neg_lo:[0,0,1] neg_hi:[0,0,1]
	v_pk_mul_f32 v[2:3], v[52:53], v[0:1] op_sel:[1,0]
	s_waitcnt lgkmcnt(0)
	v_pk_mul_f32 v[36:37], v[178:179], v[6:7] op_sel_hi:[0,1]
	v_pk_fma_f32 v[32:33], v[52:53], v[0:1], v[2:3] op_sel:[0,0,1] op_sel_hi:[1,1,0]
	v_pk_fma_f32 v[34:35], v[52:53], v[0:1], v[2:3] op_sel:[0,0,1] op_sel_hi:[0,1,0] neg_lo:[0,0,1] neg_hi:[0,0,1]
	ds_read2_b64 v[0:3], v165 offset0:12 offset1:255
	v_pk_fma_f32 v[38:39], v[54:55], v[6:7], v[36:37] op_sel:[0,0,1] op_sel_hi:[1,1,0]
	v_pk_fma_f32 v[36:37], v[54:55], v[6:7], v[36:37] op_sel:[0,0,1] op_sel_hi:[0,1,0] neg_lo:[0,0,1] neg_hi:[0,0,1]
	v_pk_mul_f32 v[6:7], v[180:181], v[4:5] op_sel_hi:[0,1]
	v_pk_fma_f32 v[40:41], v[58:59], v[4:5], v[6:7] op_sel:[0,0,1] op_sel_hi:[1,1,0]
	v_pk_fma_f32 v[44:45], v[58:59], v[4:5], v[6:7] op_sel:[0,0,1] op_sel_hi:[0,1,0] neg_lo:[0,0,1] neg_hi:[0,0,1]
	ds_read2_b64 v[4:7], v176 offset1:243
	s_waitcnt lgkmcnt(1)
	v_pk_mul_f32 v[48:49], v[56:57], v[2:3] op_sel:[1,0]
	v_mov_b32_e32 v41, v45
	v_pk_fma_f32 v[52:53], v[56:57], v[2:3], v[48:49] op_sel:[0,0,1] op_sel_hi:[1,1,0]
	v_pk_fma_f32 v[2:3], v[56:57], v[2:3], v[48:49] op_sel:[0,0,1] op_sel_hi:[0,1,0] neg_lo:[0,0,1] neg_hi:[0,0,1]
	v_mov_b32_e32 v53, v3
	s_waitcnt lgkmcnt(0)
	v_pk_add_f32 v[2:3], v[4:5], v[52:53]
	v_mov_b32_e32 v33, v35
	v_pk_add_f32 v[44:45], v[2:3], v[40:41]
	v_pk_add_f32 v[2:3], v[52:53], v[40:41]
	v_pk_add_f32 v[40:41], v[52:53], v[40:41] neg_lo:[0,1] neg_hi:[0,1]
	v_mov_b32_e32 v39, v37
	v_pk_fma_f32 v[2:3], v[2:3], 0.5, v[4:5] op_sel_hi:[1,0,1] neg_lo:[1,0,0] neg_hi:[1,0,0]
	v_pk_mul_f32 v[4:5], v[40:41], s[2:3] op_sel_hi:[1,0]
	v_pk_add_f32 v[34:35], v[32:33], v[38:39]
	v_pk_add_f32 v[40:41], v[2:3], v[4:5] op_sel:[0,1] op_sel_hi:[1,0] neg_lo:[0,1] neg_hi:[0,1]
	v_pk_add_f32 v[48:49], v[2:3], v[4:5] op_sel:[0,1] op_sel_hi:[1,0]
	ds_read2_b64 v[2:5], v173 offset0:6 offset1:249
	v_pk_fma_f32 v[34:35], v[34:35], 0.5, v[6:7] op_sel_hi:[1,0,1] neg_lo:[1,0,0] neg_hi:[1,0,0]
	v_pk_add_f32 v[6:7], v[6:7], v[32:33]
	v_pk_add_f32 v[32:33], v[32:33], v[38:39] neg_lo:[0,1] neg_hi:[0,1]
	v_mov_b32_e32 v52, v40
	v_pk_mul_f32 v[32:33], v[32:33], s[2:3] op_sel_hi:[1,0]
	v_mov_b32_e32 v53, v49
	v_pk_add_f32 v[36:37], v[34:35], v[32:33] op_sel:[0,1] op_sel_hi:[1,0]
	v_pk_add_f32 v[32:33], v[34:35], v[32:33] op_sel:[0,1] op_sel_hi:[1,0] neg_lo:[0,1] neg_hi:[0,1]
	v_mov_b32_e32 v49, v41
	v_pk_add_f32 v[6:7], v[6:7], v[38:39]
	v_mov_b32_e32 v34, v32
	v_mov_b32_e32 v35, v37
	;; [unrolled: 1-line block ×3, first 2 shown]
	s_waitcnt lgkmcnt(0)
	s_barrier
	ds_write2_b64 v47, v[44:45], v[52:53] offset1:45
	ds_write_b64 v47, v[48:49] offset:720
	ds_write2_b64 v51, v[6:7], v[34:35] offset1:45
	v_pk_add_f32 v[6:7], v[30:31], v[24:25]
	v_pk_add_f32 v[26:27], v[30:31], v[24:25] neg_lo:[0,1] neg_hi:[0,1]
	v_pk_fma_f32 v[6:7], v[6:7], 0.5, v[2:3] op_sel_hi:[1,0,1] neg_lo:[1,0,0] neg_hi:[1,0,0]
	v_pk_mul_f32 v[26:27], v[26:27], s[2:3] op_sel_hi:[1,0]
	v_pk_add_f32 v[2:3], v[2:3], v[30:31]
	v_pk_add_f32 v[28:29], v[6:7], v[26:27] op_sel:[0,1] op_sel_hi:[1,0]
	v_pk_add_f32 v[6:7], v[6:7], v[26:27] op_sel:[0,1] op_sel_hi:[1,0] neg_lo:[0,1] neg_hi:[0,1]
	v_mov_b32_e32 v37, v33
	v_pk_add_f32 v[2:3], v[2:3], v[24:25]
	v_mov_b32_e32 v24, v6
	v_mov_b32_e32 v25, v29
	;; [unrolled: 1-line block ×4, first 2 shown]
	ds_write_b64 v51, v[36:37] offset:720
	ds_write2_b64 v55, v[2:3], v[24:25] offset1:45
	v_mov_b32_e32 v29, v7
	v_pk_add_f32 v[2:3], v[16:17], v[22:23]
	v_pk_add_f32 v[6:7], v[16:17], v[22:23] neg_lo:[0,1] neg_hi:[0,1]
	v_pk_fma_f32 v[2:3], v[2:3], 0.5, v[4:5] op_sel_hi:[1,0,1] neg_lo:[1,0,0] neg_hi:[1,0,0]
	v_pk_mul_f32 v[6:7], v[6:7], s[2:3] op_sel_hi:[1,0]
	v_pk_add_f32 v[4:5], v[4:5], v[16:17]
	v_pk_add_f32 v[16:17], v[2:3], v[6:7] op_sel:[0,1] op_sel_hi:[1,0]
	v_pk_add_f32 v[2:3], v[2:3], v[6:7] op_sel:[0,1] op_sel_hi:[1,0] neg_lo:[0,1] neg_hi:[0,1]
	v_pk_add_f32 v[4:5], v[4:5], v[22:23]
	v_mov_b32_e32 v6, v2
	v_mov_b32_e32 v7, v17
	;; [unrolled: 1-line block ×3, first 2 shown]
	ds_write_b64 v55, v[28:29] offset:720
	ds_write2_b64 v59, v[4:5], v[6:7] offset1:45
	v_mov_b32_e32 v17, v3
	v_pk_add_f32 v[2:3], v[14:15], v[8:9]
	v_pk_add_f32 v[4:5], v[14:15], v[8:9] neg_lo:[0,1] neg_hi:[0,1]
	v_pk_fma_f32 v[2:3], v[2:3], 0.5, v[0:1] op_sel_hi:[1,0,1] neg_lo:[1,0,0] neg_hi:[1,0,0]
	v_pk_mul_f32 v[4:5], v[4:5], s[2:3] op_sel_hi:[1,0]
	v_pk_add_f32 v[0:1], v[0:1], v[14:15]
	v_pk_add_f32 v[6:7], v[2:3], v[4:5] op_sel:[0,1] op_sel_hi:[1,0]
	v_pk_add_f32 v[2:3], v[2:3], v[4:5] op_sel:[0,1] op_sel_hi:[1,0] neg_lo:[0,1] neg_hi:[0,1]
	v_pk_add_f32 v[0:1], v[0:1], v[8:9]
	v_mov_b32_e32 v4, v2
	v_mov_b32_e32 v5, v7
	;; [unrolled: 1-line block ×3, first 2 shown]
	ds_write_b64 v59, v[16:17] offset:720
	ds_write2_b64 v43, v[0:1], v[4:5] offset1:45
	ds_write_b64 v43, v[6:7] offset:720
	s_waitcnt lgkmcnt(0)
	s_barrier
	ds_read_b64 v[4:5], v176 offset:27216
	ds_read2_b64 v[0:3], v171 offset0:8 offset1:251
	s_waitcnt lgkmcnt(1)
	v_pk_mul_f32 v[6:7], v[210:211], v[4:5] op_sel_hi:[0,1]
	v_pk_fma_f32 v[8:9], v[62:63], v[4:5], v[6:7] op_sel:[0,0,1] op_sel_hi:[1,1,0]
	v_pk_fma_f32 v[10:11], v[62:63], v[4:5], v[6:7] op_sel:[0,0,1] op_sel_hi:[0,1,0] neg_lo:[0,0,1] neg_hi:[0,0,1]
	ds_read2_b64 v[4:7], v167 offset0:4 offset1:247
	s_waitcnt lgkmcnt(1)
	v_pk_mul_f32 v[12:13], v[60:61], v[2:3] op_sel:[1,0]
	v_mov_b32_e32 v9, v11
	v_pk_fma_f32 v[14:15], v[60:61], v[2:3], v[12:13] op_sel:[0,0,1] op_sel_hi:[1,1,0]
	v_pk_fma_f32 v[12:13], v[60:61], v[2:3], v[12:13] op_sel:[0,0,1] op_sel_hi:[0,1,0] neg_lo:[0,0,1] neg_hi:[0,0,1]
	v_pk_mul_f32 v[2:3], v[68:69], v[0:1] op_sel:[1,0]
	s_waitcnt lgkmcnt(0)
	v_pk_mul_f32 v[20:21], v[194:195], v[6:7] op_sel_hi:[0,1]
	v_pk_fma_f32 v[16:17], v[68:69], v[0:1], v[2:3] op_sel:[0,0,1] op_sel_hi:[1,1,0]
	v_pk_fma_f32 v[18:19], v[68:69], v[0:1], v[2:3] op_sel:[0,0,1] op_sel_hi:[0,1,0] neg_lo:[0,0,1] neg_hi:[0,0,1]
	ds_read2_b64 v[0:3], v169 offset0:2 offset1:245
	v_pk_fma_f32 v[22:23], v[70:71], v[6:7], v[20:21] op_sel:[0,0,1] op_sel_hi:[1,1,0]
	v_pk_fma_f32 v[20:21], v[70:71], v[6:7], v[20:21] op_sel:[0,0,1] op_sel_hi:[0,1,0] neg_lo:[0,0,1] neg_hi:[0,0,1]
	v_pk_mul_f32 v[6:7], v[192:193], v[4:5] op_sel_hi:[0,1]
	v_pk_fma_f32 v[24:25], v[66:67], v[4:5], v[6:7] op_sel:[0,0,1] op_sel_hi:[1,1,0]
	v_pk_fma_f32 v[26:27], v[66:67], v[4:5], v[6:7] op_sel:[0,0,1] op_sel_hi:[0,1,0] neg_lo:[0,0,1] neg_hi:[0,0,1]
	ds_read2_b64 v[4:7], v163 offset0:6 offset1:249
	s_waitcnt lgkmcnt(1)
	v_pk_mul_f32 v[28:29], v[64:65], v[2:3] op_sel:[1,0]
	v_mov_b32_e32 v25, v27
	v_pk_fma_f32 v[30:31], v[64:65], v[2:3], v[28:29] op_sel:[0,0,1] op_sel_hi:[1,1,0]
	v_pk_fma_f32 v[28:29], v[64:65], v[2:3], v[28:29] op_sel:[0,0,1] op_sel_hi:[0,1,0] neg_lo:[0,0,1] neg_hi:[0,0,1]
	v_pk_mul_f32 v[2:3], v[72:73], v[0:1] op_sel:[1,0]
	s_waitcnt lgkmcnt(0)
	v_pk_mul_f32 v[36:37], v[190:191], v[6:7] op_sel_hi:[0,1]
	v_pk_fma_f32 v[32:33], v[72:73], v[0:1], v[2:3] op_sel:[0,0,1] op_sel_hi:[1,1,0]
	v_pk_fma_f32 v[34:35], v[72:73], v[0:1], v[2:3] op_sel:[0,0,1] op_sel_hi:[0,1,0] neg_lo:[0,0,1] neg_hi:[0,0,1]
	ds_read2_b64 v[0:3], v165 offset0:12 offset1:255
	v_pk_fma_f32 v[38:39], v[74:75], v[6:7], v[36:37] op_sel:[0,0,1] op_sel_hi:[1,1,0]
	v_pk_fma_f32 v[36:37], v[74:75], v[6:7], v[36:37] op_sel:[0,0,1] op_sel_hi:[0,1,0] neg_lo:[0,0,1] neg_hi:[0,0,1]
	v_pk_mul_f32 v[6:7], v[188:189], v[4:5] op_sel_hi:[0,1]
	v_pk_fma_f32 v[40:41], v[78:79], v[4:5], v[6:7] op_sel:[0,0,1] op_sel_hi:[1,1,0]
	v_pk_fma_f32 v[42:43], v[78:79], v[4:5], v[6:7] op_sel:[0,0,1] op_sel_hi:[0,1,0] neg_lo:[0,0,1] neg_hi:[0,0,1]
	ds_read2_b64 v[4:7], v176 offset1:243
	s_waitcnt lgkmcnt(1)
	v_pk_mul_f32 v[44:45], v[76:77], v[2:3] op_sel:[1,0]
	v_mov_b32_e32 v41, v43
	v_pk_fma_f32 v[46:47], v[76:77], v[2:3], v[44:45] op_sel:[0,0,1] op_sel_hi:[1,1,0]
	v_pk_fma_f32 v[2:3], v[76:77], v[2:3], v[44:45] op_sel:[0,0,1] op_sel_hi:[0,1,0] neg_lo:[0,0,1] neg_hi:[0,0,1]
	v_mov_b32_e32 v47, v3
	s_waitcnt lgkmcnt(0)
	v_pk_add_f32 v[2:3], v[4:5], v[46:47]
	v_mov_b32_e32 v33, v35
	v_pk_add_f32 v[42:43], v[2:3], v[40:41]
	v_pk_add_f32 v[2:3], v[46:47], v[40:41]
	v_pk_add_f32 v[40:41], v[46:47], v[40:41] neg_lo:[0,1] neg_hi:[0,1]
	v_mov_b32_e32 v39, v37
	v_pk_fma_f32 v[2:3], v[2:3], 0.5, v[4:5] op_sel_hi:[1,0,1] neg_lo:[1,0,0] neg_hi:[1,0,0]
	v_pk_mul_f32 v[4:5], v[40:41], s[2:3] op_sel_hi:[1,0]
	v_pk_add_f32 v[34:35], v[32:33], v[38:39]
	v_pk_add_f32 v[40:41], v[2:3], v[4:5] op_sel:[0,1] op_sel_hi:[1,0] neg_lo:[0,1] neg_hi:[0,1]
	v_pk_add_f32 v[44:45], v[2:3], v[4:5] op_sel:[0,1] op_sel_hi:[1,0]
	ds_read2_b64 v[2:5], v173 offset0:6 offset1:249
	v_pk_fma_f32 v[34:35], v[34:35], 0.5, v[6:7] op_sel_hi:[1,0,1] neg_lo:[1,0,0] neg_hi:[1,0,0]
	v_pk_add_f32 v[6:7], v[6:7], v[32:33]
	v_pk_add_f32 v[32:33], v[32:33], v[38:39] neg_lo:[0,1] neg_hi:[0,1]
	v_mov_b32_e32 v46, v40
	v_pk_mul_f32 v[32:33], v[32:33], s[2:3] op_sel_hi:[1,0]
	v_mov_b32_e32 v47, v45
	v_pk_add_f32 v[36:37], v[34:35], v[32:33] op_sel:[0,1] op_sel_hi:[1,0]
	v_pk_add_f32 v[32:33], v[34:35], v[32:33] op_sel:[0,1] op_sel_hi:[1,0] neg_lo:[0,1] neg_hi:[0,1]
	v_mov_b32_e32 v45, v41
	v_pk_add_f32 v[6:7], v[6:7], v[38:39]
	v_mov_b32_e32 v34, v32
	v_mov_b32_e32 v35, v37
	;; [unrolled: 1-line block ×3, first 2 shown]
	s_waitcnt lgkmcnt(0)
	s_barrier
	ds_write2_b64 v67, v[42:43], v[46:47] offset1:135
	ds_write_b64 v67, v[44:45] offset:2160
	ds_write2_b64 v71, v[6:7], v[34:35] offset1:135
	v_pk_add_f32 v[6:7], v[30:31], v[24:25]
	v_pk_add_f32 v[26:27], v[30:31], v[24:25] neg_lo:[0,1] neg_hi:[0,1]
	v_pk_fma_f32 v[6:7], v[6:7], 0.5, v[2:3] op_sel_hi:[1,0,1] neg_lo:[1,0,0] neg_hi:[1,0,0]
	v_pk_mul_f32 v[26:27], v[26:27], s[2:3] op_sel_hi:[1,0]
	v_pk_add_f32 v[2:3], v[2:3], v[30:31]
	v_pk_add_f32 v[28:29], v[6:7], v[26:27] op_sel:[0,1] op_sel_hi:[1,0]
	v_pk_add_f32 v[6:7], v[6:7], v[26:27] op_sel:[0,1] op_sel_hi:[1,0] neg_lo:[0,1] neg_hi:[0,1]
	v_mov_b32_e32 v37, v33
	v_pk_add_f32 v[2:3], v[2:3], v[24:25]
	v_mov_b32_e32 v24, v6
	v_mov_b32_e32 v25, v29
	;; [unrolled: 1-line block ×4, first 2 shown]
	ds_write_b64 v71, v[36:37] offset:2160
	ds_write2_b64 v75, v[2:3], v[24:25] offset1:135
	v_mov_b32_e32 v29, v7
	v_pk_add_f32 v[2:3], v[16:17], v[22:23]
	v_pk_add_f32 v[6:7], v[16:17], v[22:23] neg_lo:[0,1] neg_hi:[0,1]
	v_pk_fma_f32 v[2:3], v[2:3], 0.5, v[4:5] op_sel_hi:[1,0,1] neg_lo:[1,0,0] neg_hi:[1,0,0]
	v_pk_mul_f32 v[6:7], v[6:7], s[2:3] op_sel_hi:[1,0]
	v_pk_add_f32 v[4:5], v[4:5], v[16:17]
	v_pk_add_f32 v[16:17], v[2:3], v[6:7] op_sel:[0,1] op_sel_hi:[1,0]
	v_pk_add_f32 v[2:3], v[2:3], v[6:7] op_sel:[0,1] op_sel_hi:[1,0] neg_lo:[0,1] neg_hi:[0,1]
	v_pk_add_f32 v[4:5], v[4:5], v[22:23]
	v_mov_b32_e32 v6, v2
	v_mov_b32_e32 v7, v17
	v_mov_b32_e32 v15, v13
	ds_write_b64 v75, v[28:29] offset:2160
	ds_write2_b64 v79, v[4:5], v[6:7] offset1:135
	v_mov_b32_e32 v17, v3
	v_pk_add_f32 v[2:3], v[14:15], v[8:9]
	v_pk_add_f32 v[4:5], v[14:15], v[8:9] neg_lo:[0,1] neg_hi:[0,1]
	v_pk_fma_f32 v[2:3], v[2:3], 0.5, v[0:1] op_sel_hi:[1,0,1] neg_lo:[1,0,0] neg_hi:[1,0,0]
	v_pk_mul_f32 v[4:5], v[4:5], s[2:3] op_sel_hi:[1,0]
	v_pk_add_f32 v[0:1], v[0:1], v[14:15]
	v_pk_add_f32 v[6:7], v[2:3], v[4:5] op_sel:[0,1] op_sel_hi:[1,0]
	v_pk_add_f32 v[2:3], v[2:3], v[4:5] op_sel:[0,1] op_sel_hi:[1,0] neg_lo:[0,1] neg_hi:[0,1]
	v_pk_add_f32 v[0:1], v[0:1], v[8:9]
	v_mov_b32_e32 v4, v2
	v_mov_b32_e32 v5, v7
	;; [unrolled: 1-line block ×3, first 2 shown]
	ds_write_b64 v79, v[16:17] offset:2160
	ds_write2_b64 v63, v[0:1], v[4:5] offset1:135
	ds_write_b64 v63, v[6:7] offset:2160
	s_waitcnt lgkmcnt(0)
	s_barrier
	ds_read_b64 v[4:5], v176 offset:27216
	ds_read2_b64 v[0:3], v171 offset0:8 offset1:251
	s_waitcnt lgkmcnt(1)
	v_pk_mul_f32 v[6:7], v[212:213], v[4:5] op_sel_hi:[0,1]
	v_pk_fma_f32 v[8:9], v[82:83], v[4:5], v[6:7] op_sel:[0,0,1] op_sel_hi:[1,1,0]
	v_pk_fma_f32 v[10:11], v[82:83], v[4:5], v[6:7] op_sel:[0,0,1] op_sel_hi:[0,1,0] neg_lo:[0,0,1] neg_hi:[0,0,1]
	s_waitcnt lgkmcnt(0)
	v_pk_mul_f32 v[12:13], v[80:81], v[2:3] op_sel:[1,0]
	ds_read2_b64 v[4:7], v167 offset0:4 offset1:247
	v_pk_fma_f32 v[14:15], v[80:81], v[2:3], v[12:13] op_sel:[0,0,1] op_sel_hi:[1,1,0]
	v_pk_fma_f32 v[12:13], v[80:81], v[2:3], v[12:13] op_sel:[0,0,1] op_sel_hi:[0,1,0] neg_lo:[0,0,1] neg_hi:[0,0,1]
	v_pk_mul_f32 v[2:3], v[84:85], v[0:1] op_sel:[1,0]
	v_mov_b32_e32 v9, v11
	v_pk_fma_f32 v[16:17], v[84:85], v[0:1], v[2:3] op_sel:[0,0,1] op_sel_hi:[1,1,0]
	v_pk_fma_f32 v[18:19], v[84:85], v[0:1], v[2:3] op_sel:[0,0,1] op_sel_hi:[0,1,0] neg_lo:[0,0,1] neg_hi:[0,0,1]
	ds_read2_b64 v[0:3], v169 offset0:2 offset1:245
	s_waitcnt lgkmcnt(1)
	v_pk_mul_f32 v[20:21], v[204:205], v[6:7] op_sel_hi:[0,1]
	v_pk_fma_f32 v[22:23], v[86:87], v[6:7], v[20:21] op_sel:[0,0,1] op_sel_hi:[1,1,0]
	v_pk_fma_f32 v[20:21], v[86:87], v[6:7], v[20:21] op_sel:[0,0,1] op_sel_hi:[0,1,0] neg_lo:[0,0,1] neg_hi:[0,0,1]
	v_pk_mul_f32 v[6:7], v[200:201], v[4:5] op_sel_hi:[0,1]
	v_pk_fma_f32 v[24:25], v[90:91], v[4:5], v[6:7] op_sel:[0,0,1] op_sel_hi:[1,1,0]
	v_pk_fma_f32 v[26:27], v[90:91], v[4:5], v[6:7] op_sel:[0,0,1] op_sel_hi:[0,1,0] neg_lo:[0,0,1] neg_hi:[0,0,1]
	s_waitcnt lgkmcnt(0)
	v_pk_mul_f32 v[28:29], v[88:89], v[2:3] op_sel:[1,0]
	ds_read2_b64 v[4:7], v163 offset0:6 offset1:249
	v_pk_fma_f32 v[30:31], v[88:89], v[2:3], v[28:29] op_sel:[0,0,1] op_sel_hi:[1,1,0]
	v_pk_fma_f32 v[28:29], v[88:89], v[2:3], v[28:29] op_sel:[0,0,1] op_sel_hi:[0,1,0] neg_lo:[0,0,1] neg_hi:[0,0,1]
	v_pk_mul_f32 v[2:3], v[96:97], v[0:1] op_sel:[1,0]
	v_mov_b32_e32 v17, v19
	v_pk_fma_f32 v[32:33], v[96:97], v[0:1], v[2:3] op_sel:[0,0,1] op_sel_hi:[1,1,0]
	v_pk_fma_f32 v[34:35], v[96:97], v[0:1], v[2:3] op_sel:[0,0,1] op_sel_hi:[0,1,0] neg_lo:[0,0,1] neg_hi:[0,0,1]
	ds_read2_b64 v[0:3], v165 offset0:12 offset1:255
	s_waitcnt lgkmcnt(1)
	v_pk_mul_f32 v[36:37], v[202:203], v[6:7] op_sel_hi:[0,1]
	v_pk_fma_f32 v[38:39], v[98:99], v[6:7], v[36:37] op_sel:[0,0,1] op_sel_hi:[1,1,0]
	v_pk_fma_f32 v[6:7], v[98:99], v[6:7], v[36:37] op_sel:[0,0,1] op_sel_hi:[0,1,0] neg_lo:[0,0,1] neg_hi:[0,0,1]
	v_pk_mul_f32 v[36:37], v[198:199], v[4:5] op_sel_hi:[0,1]
	v_pk_fma_f32 v[40:41], v[102:103], v[4:5], v[36:37] op_sel:[0,0,1] op_sel_hi:[1,1,0]
	v_pk_fma_f32 v[36:37], v[102:103], v[4:5], v[36:37] op_sel:[0,0,1] op_sel_hi:[0,1,0] neg_lo:[0,0,1] neg_hi:[0,0,1]
	s_waitcnt lgkmcnt(0)
	v_pk_mul_f32 v[4:5], v[100:101], v[2:3] op_sel:[1,0]
	v_mov_b32_e32 v41, v37
	v_pk_fma_f32 v[42:43], v[100:101], v[2:3], v[4:5] op_sel:[0,0,1] op_sel_hi:[1,1,0]
	v_pk_fma_f32 v[2:3], v[100:101], v[2:3], v[4:5] op_sel:[0,0,1] op_sel_hi:[0,1,0] neg_lo:[0,0,1] neg_hi:[0,0,1]
	v_mov_b32_e32 v43, v3
	ds_read2_b64 v[2:5], v176 offset1:243
	v_mov_b32_e32 v39, v7
	v_pk_add_f32 v[6:7], v[42:43], v[40:41]
	v_mov_b32_e32 v33, v35
	v_pk_add_f32 v[34:35], v[32:33], v[38:39]
	s_waitcnt lgkmcnt(0)
	v_pk_fma_f32 v[6:7], v[6:7], 0.5, v[2:3] op_sel_hi:[1,0,1] neg_lo:[1,0,0] neg_hi:[1,0,0]
	v_pk_add_f32 v[2:3], v[2:3], v[42:43]
	v_pk_add_f32 v[36:37], v[4:5], v[32:33]
	;; [unrolled: 1-line block ×3, first 2 shown]
	v_pk_add_f32 v[40:41], v[42:43], v[40:41] neg_lo:[0,1] neg_hi:[0,1]
	v_pk_fma_f32 v[34:35], v[34:35], 0.5, v[4:5] op_sel_hi:[1,0,1] neg_lo:[1,0,0] neg_hi:[1,0,0]
	v_pk_mul_f32 v[40:41], v[40:41], s[2:3] op_sel_hi:[1,0]
	ds_read2_b64 v[2:5], v173 offset0:6 offset1:249
	v_pk_add_f32 v[42:43], v[6:7], v[40:41] op_sel:[0,1] op_sel_hi:[1,0]
	v_pk_add_f32 v[6:7], v[6:7], v[40:41] op_sel:[0,1] op_sel_hi:[1,0] neg_lo:[0,1] neg_hi:[0,1]
	v_mov_b32_e32 v41, v43
	v_mov_b32_e32 v40, v6
	;; [unrolled: 1-line block ×3, first 2 shown]
	v_pk_add_f32 v[6:7], v[36:37], v[38:39]
	s_waitcnt lgkmcnt(0)
	s_barrier
	ds_write_b64 v176, v[44:45]
	ds_write_b64 v176, v[40:41] offset:3240
	ds_write_b64 v176, v[42:43] offset:6480
	ds_write_b64 v87, v[6:7]
	v_pk_add_f32 v[6:7], v[32:33], v[38:39] neg_lo:[0,1] neg_hi:[0,1]
	v_mov_b32_e32 v23, v21
	v_pk_mul_f32 v[6:7], v[6:7], s[2:3] op_sel_hi:[1,0]
	v_pk_add_f32 v[10:11], v[16:17], v[22:23] neg_lo:[0,1] neg_hi:[0,1]
	v_pk_add_f32 v[32:33], v[34:35], v[6:7] op_sel:[0,1] op_sel_hi:[1,0] neg_lo:[0,1] neg_hi:[0,1]
	v_pk_add_f32 v[6:7], v[34:35], v[6:7] op_sel:[0,1] op_sel_hi:[1,0]
	v_pk_mul_f32 v[10:11], v[10:11], s[2:3] op_sel_hi:[1,0]
	v_mov_b32_e32 v35, v7
	v_mov_b32_e32 v7, v33
	ds_write_b64 v87, v[6:7] offset:6480
	v_pk_add_f32 v[6:7], v[16:17], v[22:23]
	v_mov_b32_e32 v31, v29
	v_pk_fma_f32 v[6:7], v[6:7], 0.5, v[4:5] op_sel_hi:[1,0,1] neg_lo:[1,0,0] neg_hi:[1,0,0]
	v_mov_b32_e32 v25, v27
	v_mov_b32_e32 v15, v13
	v_pk_add_f32 v[12:13], v[6:7], v[10:11] op_sel:[0,1] op_sel_hi:[1,0]
	v_pk_add_f32 v[6:7], v[6:7], v[10:11] op_sel:[0,1] op_sel_hi:[1,0] neg_lo:[0,1] neg_hi:[0,1]
	v_pk_add_f32 v[10:11], v[30:31], v[24:25]
	v_pk_add_f32 v[4:5], v[4:5], v[16:17]
	v_pk_add_f32 v[16:17], v[30:31], v[24:25] neg_lo:[0,1] neg_hi:[0,1]
	v_pk_fma_f32 v[10:11], v[10:11], 0.5, v[2:3] op_sel_hi:[1,0,1] neg_lo:[1,0,0] neg_hi:[1,0,0]
	v_pk_add_f32 v[2:3], v[2:3], v[30:31]
	v_pk_mul_f32 v[16:17], v[16:17], s[2:3] op_sel_hi:[1,0]
	v_mov_b32_e32 v34, v32
	v_pk_add_f32 v[18:19], v[10:11], v[16:17] op_sel:[0,1] op_sel_hi:[1,0]
	v_pk_add_f32 v[10:11], v[10:11], v[16:17] op_sel:[0,1] op_sel_hi:[1,0] neg_lo:[0,1] neg_hi:[0,1]
	v_pk_add_f32 v[2:3], v[2:3], v[24:25]
	ds_write_b64 v87, v[34:35] offset:3240
	ds_write_b64 v176, v[2:3] offset:10368
	v_mov_b32_e32 v2, v10
	v_mov_b32_e32 v3, v19
	ds_write_b64 v176, v[2:3] offset:13608
	v_mov_b32_e32 v19, v11
	v_pk_add_f32 v[2:3], v[4:5], v[22:23]
	ds_write_b64 v176, v[18:19] offset:16848
	ds_write_b64 v91, v[2:3]
	v_mov_b32_e32 v2, v6
	v_mov_b32_e32 v3, v13
	ds_write_b64 v91, v[2:3] offset:3240
	v_pk_add_f32 v[2:3], v[14:15], v[8:9]
	v_pk_add_f32 v[4:5], v[14:15], v[8:9] neg_lo:[0,1] neg_hi:[0,1]
	v_pk_fma_f32 v[2:3], v[2:3], 0.5, v[0:1] op_sel_hi:[1,0,1] neg_lo:[1,0,0] neg_hi:[1,0,0]
	v_pk_mul_f32 v[4:5], v[4:5], s[2:3] op_sel_hi:[1,0]
	v_pk_add_f32 v[0:1], v[0:1], v[14:15]
	v_mov_b32_e32 v13, v7
	v_pk_add_f32 v[6:7], v[2:3], v[4:5] op_sel:[0,1] op_sel_hi:[1,0]
	v_pk_add_f32 v[2:3], v[2:3], v[4:5] op_sel:[0,1] op_sel_hi:[1,0] neg_lo:[0,1] neg_hi:[0,1]
	v_pk_add_f32 v[0:1], v[0:1], v[8:9]
	ds_write_b64 v91, v[12:13] offset:6480
	ds_write_b64 v83, v[0:1] offset:19440
	v_mov_b32_e32 v0, v2
	v_mov_b32_e32 v1, v7
	;; [unrolled: 1-line block ×3, first 2 shown]
	ds_write_b64 v83, v[0:1] offset:22680
	ds_write_b64 v83, v[6:7] offset:25920
	s_waitcnt lgkmcnt(0)
	s_barrier
	ds_read2_b64 v[0:3], v171 offset0:8 offset1:251
	ds_read2_b64 v[4:7], v167 offset0:4 offset1:247
	s_waitcnt lgkmcnt(1)
	v_pk_mul_f32 v[8:9], v[112:113], v[0:1] op_sel:[1,0]
	s_nop 0
	v_pk_fma_f32 v[10:11], v[112:113], v[0:1], v[8:9] op_sel:[0,0,1] op_sel_hi:[1,1,0]
	v_pk_fma_f32 v[12:13], v[112:113], v[0:1], v[8:9] op_sel:[0,0,1] op_sel_hi:[0,1,0] neg_lo:[0,0,1] neg_hi:[0,0,1]
	s_waitcnt lgkmcnt(0)
	v_pk_mul_f32 v[0:1], v[216:217], v[6:7] op_sel_hi:[0,1]
	ds_read_b64 v[8:9], v176 offset:27216
	v_pk_fma_f32 v[14:15], v[114:115], v[6:7], v[0:1] op_sel:[0,0,1] op_sel_hi:[1,1,0]
	v_pk_fma_f32 v[16:17], v[114:115], v[6:7], v[0:1] op_sel:[0,0,1] op_sel_hi:[0,1,0] neg_lo:[0,0,1] neg_hi:[0,0,1]
	v_pk_mul_f32 v[0:1], v[116:117], v[2:3] op_sel:[1,0]
	v_mov_b32_e32 v11, v13
	v_pk_fma_f32 v[18:19], v[116:117], v[2:3], v[0:1] op_sel:[0,0,1] op_sel_hi:[1,1,0]
	v_pk_fma_f32 v[20:21], v[116:117], v[2:3], v[0:1] op_sel:[0,0,1] op_sel_hi:[0,1,0] neg_lo:[0,0,1] neg_hi:[0,0,1]
	ds_read2_b64 v[0:3], v169 offset0:2 offset1:245
	s_waitcnt lgkmcnt(1)
	v_pk_mul_f32 v[6:7], v[218:219], v[8:9] op_sel_hi:[0,1]
	v_pk_fma_f32 v[22:23], v[118:119], v[8:9], v[6:7] op_sel:[0,0,1] op_sel_hi:[1,1,0]
	v_pk_fma_f32 v[24:25], v[118:119], v[8:9], v[6:7] op_sel:[0,0,1] op_sel_hi:[0,1,0] neg_lo:[0,0,1] neg_hi:[0,0,1]
	v_pk_mul_f32 v[6:7], v[214:215], v[4:5] op_sel_hi:[0,1]
	v_pk_fma_f32 v[26:27], v[110:111], v[4:5], v[6:7] op_sel:[0,0,1] op_sel_hi:[1,1,0]
	v_pk_fma_f32 v[28:29], v[110:111], v[4:5], v[6:7] op_sel:[0,0,1] op_sel_hi:[0,1,0] neg_lo:[0,0,1] neg_hi:[0,0,1]
	s_waitcnt lgkmcnt(0)
	v_pk_mul_f32 v[8:9], v[108:109], v[2:3] op_sel:[1,0]
	ds_read2_b64 v[4:7], v163 offset0:6 offset1:249
	v_pk_fma_f32 v[30:31], v[108:109], v[2:3], v[8:9] op_sel:[0,0,1] op_sel_hi:[1,1,0]
	v_pk_fma_f32 v[8:9], v[108:109], v[2:3], v[8:9] op_sel:[0,0,1] op_sel_hi:[0,1,0] neg_lo:[0,0,1] neg_hi:[0,0,1]
	v_pk_mul_f32 v[2:3], v[104:105], v[0:1] op_sel:[1,0]
	v_mov_b32_e32 v23, v25
	v_pk_fma_f32 v[32:33], v[104:105], v[0:1], v[2:3] op_sel:[0,0,1] op_sel_hi:[1,1,0]
	v_pk_fma_f32 v[34:35], v[104:105], v[0:1], v[2:3] op_sel:[0,0,1] op_sel_hi:[0,1,0] neg_lo:[0,0,1] neg_hi:[0,0,1]
	ds_read2_b64 v[0:3], v165 offset0:12 offset1:255
	s_waitcnt lgkmcnt(1)
	v_pk_mul_f32 v[36:37], v[208:209], v[6:7] op_sel_hi:[0,1]
	v_pk_fma_f32 v[38:39], v[106:107], v[6:7], v[36:37] op_sel:[0,0,1] op_sel_hi:[1,1,0]
	v_pk_fma_f32 v[6:7], v[106:107], v[6:7], v[36:37] op_sel:[0,0,1] op_sel_hi:[0,1,0] neg_lo:[0,0,1] neg_hi:[0,0,1]
	v_pk_mul_f32 v[36:37], v[206:207], v[4:5] op_sel_hi:[0,1]
	v_pk_fma_f32 v[40:41], v[94:95], v[4:5], v[36:37] op_sel:[0,0,1] op_sel_hi:[1,1,0]
	v_pk_fma_f32 v[36:37], v[94:95], v[4:5], v[36:37] op_sel:[0,0,1] op_sel_hi:[0,1,0] neg_lo:[0,0,1] neg_hi:[0,0,1]
	s_waitcnt lgkmcnt(0)
	v_pk_mul_f32 v[4:5], v[92:93], v[2:3] op_sel:[1,0]
	v_mov_b32_e32 v41, v37
	v_pk_fma_f32 v[42:43], v[92:93], v[2:3], v[4:5] op_sel:[0,0,1] op_sel_hi:[1,1,0]
	v_pk_fma_f32 v[44:45], v[92:93], v[2:3], v[4:5] op_sel:[0,0,1] op_sel_hi:[0,1,0] neg_lo:[0,0,1] neg_hi:[0,0,1]
	ds_read2_b64 v[2:5], v176 offset1:243
	v_mov_b32_e32 v43, v45
	v_pk_add_f32 v[24:25], v[42:43], v[40:41]
	v_mov_b32_e32 v33, v35
	v_mov_b32_e32 v39, v7
	s_waitcnt lgkmcnt(0)
	v_pk_add_f32 v[34:35], v[2:3], v[42:43]
	v_pk_fma_f32 v[2:3], v[24:25], 0.5, v[2:3] op_sel_hi:[1,0,1] neg_lo:[1,0,0] neg_hi:[1,0,0]
	v_pk_add_f32 v[24:25], v[42:43], v[40:41] neg_lo:[0,1] neg_hi:[0,1]
	v_mov_b32_e32 v27, v29
	v_pk_mul_f32 v[24:25], v[24:25], s[2:3] op_sel_hi:[1,0]
	v_pk_add_f32 v[28:29], v[4:5], v[32:33]
	v_pk_add_f32 v[36:37], v[2:3], v[24:25] op_sel:[0,1] op_sel_hi:[1,0] neg_lo:[0,1] neg_hi:[0,1]
	v_pk_add_f32 v[2:3], v[2:3], v[24:25] op_sel:[0,1] op_sel_hi:[1,0]
	v_mov_b32_e32 v24, v36
	v_mov_b32_e32 v25, v3
	;; [unrolled: 1-line block ×3, first 2 shown]
	v_pk_add_f32 v[34:35], v[34:35], v[40:41]
	v_mov_b32_e32 v31, v9
	ds_read2_b64 v[6:9], v173 offset0:6 offset1:249
	v_pk_add_f32 v[28:29], v[28:29], v[38:39]
	ds_write_b64 v176, v[24:25] offset:9720
	ds_write_b64 v176, v[2:3] offset:19440
	ds_write2_b64 v176, v[34:35], v[28:29] offset1:243
	v_pk_add_f32 v[2:3], v[32:33], v[38:39]
	s_waitcnt lgkmcnt(3)
	v_pk_add_f32 v[12:13], v[6:7], v[30:31]
	v_pk_fma_f32 v[2:3], v[2:3], 0.5, v[4:5] op_sel_hi:[1,0,1] neg_lo:[1,0,0] neg_hi:[1,0,0]
	v_pk_add_f32 v[4:5], v[32:33], v[38:39] neg_lo:[0,1] neg_hi:[0,1]
	v_pk_add_f32 v[12:13], v[12:13], v[26:27]
	v_pk_mul_f32 v[4:5], v[4:5], s[2:3] op_sel_hi:[1,0]
	v_mov_b32_e32 v15, v17
	v_pk_add_f32 v[24:25], v[2:3], v[4:5] op_sel:[0,1] op_sel_hi:[1,0] neg_lo:[0,1] neg_hi:[0,1]
	v_pk_add_f32 v[2:3], v[2:3], v[4:5] op_sel:[0,1] op_sel_hi:[1,0]
	v_mov_b32_e32 v5, v25
	v_mov_b32_e32 v4, v2
	;; [unrolled: 1-line block ×3, first 2 shown]
	v_pk_add_f32 v[2:3], v[30:31], v[26:27]
	v_pk_add_f32 v[16:17], v[8:9], v[10:11]
	v_pk_fma_f32 v[2:3], v[2:3], 0.5, v[6:7] op_sel_hi:[1,0,1] neg_lo:[1,0,0] neg_hi:[1,0,0]
	v_pk_add_f32 v[6:7], v[30:31], v[26:27] neg_lo:[0,1] neg_hi:[0,1]
	v_pk_add_f32 v[16:17], v[16:17], v[14:15]
	v_pk_mul_f32 v[6:7], v[6:7], s[2:3] op_sel_hi:[1,0]
	v_mov_b32_e32 v19, v21
	v_pk_add_f32 v[26:27], v[2:3], v[6:7] op_sel:[0,1] op_sel_hi:[1,0] neg_lo:[0,1] neg_hi:[0,1]
	v_pk_add_f32 v[2:3], v[2:3], v[6:7] op_sel:[0,1] op_sel_hi:[1,0]
	v_mov_b32_e32 v6, v26
	v_mov_b32_e32 v7, v3
	;; [unrolled: 1-line block ×3, first 2 shown]
	ds_write2_b64 v169, v[24:25], v[6:7] offset0:2 offset1:245
	ds_write2_b64 v95, v[4:5], v[2:3] offset0:1 offset1:244
	;; [unrolled: 1-line block ×3, first 2 shown]
	v_pk_add_f32 v[2:3], v[10:11], v[14:15]
	v_pk_add_f32 v[4:5], v[10:11], v[14:15] neg_lo:[0,1] neg_hi:[0,1]
	v_pk_fma_f32 v[2:3], v[2:3], 0.5, v[8:9] op_sel_hi:[1,0,1] neg_lo:[1,0,0] neg_hi:[1,0,0]
	v_pk_mul_f32 v[4:5], v[4:5], s[2:3] op_sel_hi:[1,0]
	v_pk_add_f32 v[20:21], v[0:1], v[18:19]
	v_pk_add_f32 v[6:7], v[2:3], v[4:5] op_sel:[0,1] op_sel_hi:[1,0] neg_lo:[0,1] neg_hi:[0,1]
	v_pk_add_f32 v[2:3], v[2:3], v[4:5] op_sel:[0,1] op_sel_hi:[1,0]
	v_pk_add_f32 v[20:21], v[20:21], v[22:23]
	v_mov_b32_e32 v5, v3
	v_mov_b32_e32 v3, v7
	ds_write_b64 v176, v[2:3] offset:25272
	ds_write_b64 v176, v[20:21] offset:7776
	v_pk_add_f32 v[2:3], v[18:19], v[22:23]
	v_mov_b32_e32 v4, v6
	v_pk_fma_f32 v[0:1], v[2:3], 0.5, v[0:1] op_sel_hi:[1,0,1] neg_lo:[1,0,0] neg_hi:[1,0,0]
	v_pk_add_f32 v[2:3], v[18:19], v[22:23] neg_lo:[0,1] neg_hi:[0,1]
	v_mov_b32_e32 v8, s0
	v_pk_mul_f32 v[2:3], v[2:3], s[2:3] op_sel_hi:[1,0]
	v_mov_b32_e32 v9, s1
	v_pk_add_f32 v[6:7], v[0:1], v[2:3] op_sel:[0,1] op_sel_hi:[1,0] neg_lo:[0,1] neg_hi:[0,1]
	v_pk_add_f32 v[0:1], v[0:1], v[2:3] op_sel:[0,1] op_sel_hi:[1,0]
	v_mov_b32_e32 v2, v6
	v_mov_b32_e32 v3, v1
	;; [unrolled: 1-line block ×3, first 2 shown]
	ds_write2_b64 v171, v[4:5], v[2:3] offset0:8 offset1:251
	ds_write_b64 v176, v[0:1] offset:27216
	s_waitcnt lgkmcnt(0)
	s_barrier
	ds_read2_b64 v[0:3], v176 offset1:243
	s_mov_b32 s0, 0x8098d3d3
	s_mov_b32 s1, 0x3f31facd
	v_accvgpr_read_b32 v14, a0
	v_mov_b32_e32 v15, v154
	s_waitcnt lgkmcnt(0)
	v_mul_f32_e32 v4, v157, v1
	v_fmac_f32_e32 v4, v156, v0
	v_mul_f32_e32 v0, v157, v0
	v_fma_f32 v0, v156, v1, -v0
	v_cvt_f64_f32_e32 v[0:1], v0
	v_cvt_f64_f32_e32 v[4:5], v4
	v_mul_f64 v[0:1], v[0:1], s[0:1]
	v_mul_f64 v[4:5], v[4:5], s[0:1]
	v_cvt_f32_f64_e32 v11, v[0:1]
	v_mad_u64_u32 v[0:1], s[2:3], s4, v134, 0
	v_cvt_f32_f64_e32 v10, v[4:5]
	v_mov_b32_e32 v4, v1
	v_mad_u64_u32 v[12:13], s[2:3], s5, v134, v[4:5]
	ds_read2_b64 v[4:7], v173 offset0:6 offset1:249
	v_mov_b32_e32 v1, v12
	v_lshl_add_u64 v[8:9], v[14:15], 3, v[8:9]
	v_lshl_add_u64 v[0:1], v[0:1], 3, v[8:9]
	global_store_dwordx2 v[0:1], v[10:11], off
	s_waitcnt lgkmcnt(0)
	v_mul_f32_e32 v8, v153, v7
	v_fmac_f32_e32 v8, v152, v6
	v_mul_f32_e32 v6, v153, v6
	v_fma_f32 v6, v152, v7, -v6
	v_cvt_f64_f32_e32 v[8:9], v8
	v_cvt_f64_f32_e32 v[6:7], v6
	v_mul_f64 v[8:9], v[8:9], s[0:1]
	v_mul_f64 v[6:7], v[6:7], s[0:1]
	v_cvt_f32_f64_e32 v10, v[8:9]
	v_cvt_f32_f64_e32 v11, v[6:7]
	ds_read2_b64 v[6:9], v169 offset0:2 offset1:245
	v_mad_u64_u32 v[0:1], s[2:3], s4, v155, v[0:1]
	s_mul_i32 s2, s5, 0x16c8
	s_nop 0
	v_add_u32_e32 v1, s2, v1
	global_store_dwordx2 v[0:1], v[10:11], off
	s_waitcnt lgkmcnt(0)
	v_mul_f32_e32 v10, v149, v7
	v_fmac_f32_e32 v10, v148, v6
	v_cvt_f64_f32_e32 v[10:11], v10
	v_mul_f64 v[10:11], v[10:11], s[0:1]
	v_cvt_f32_f64_e32 v14, v[10:11]
	ds_read2_b64 v[10:13], v171 offset0:8 offset1:251
	v_mul_f32_e32 v6, v149, v6
	v_fma_f32 v6, v148, v7, -v6
	v_cvt_f64_f32_e32 v[6:7], v6
	v_mul_f64 v[6:7], v[6:7], s[0:1]
	v_cvt_f32_f64_e32 v15, v[6:7]
	s_waitcnt lgkmcnt(0)
	v_mul_f32_e32 v6, v143, v13
	v_fmac_f32_e32 v6, v142, v12
	v_cvt_f64_f32_e32 v[6:7], v6
	v_mul_f64 v[6:7], v[6:7], s[0:1]
	v_cvt_f32_f64_e32 v6, v[6:7]
	v_mul_f32_e32 v7, v143, v12
	v_fma_f32 v7, v142, v13, -v7
	v_mad_u64_u32 v[0:1], s[6:7], s4, v155, v[0:1]
	v_cvt_f64_f32_e32 v[12:13], v7
	v_add_u32_e32 v1, s2, v1
	v_mul_f64 v[12:13], v[12:13], s[0:1]
	global_store_dwordx2 v[0:1], v[14:15], off
	v_cvt_f32_f64_e32 v7, v[12:13]
	ds_read2_b64 v[12:15], v167 offset0:4 offset1:247
	v_mad_u64_u32 v[0:1], s[6:7], s4, v155, v[0:1]
	v_add_u32_e32 v1, s2, v1
	global_store_dwordx2 v[0:1], v[6:7], off
	s_waitcnt lgkmcnt(0)
	v_mul_f32_e32 v6, v145, v13
	v_fmac_f32_e32 v6, v144, v12
	v_cvt_f64_f32_e32 v[6:7], v6
	v_mul_f64 v[6:7], v[6:7], s[0:1]
	v_cvt_f32_f64_e32 v6, v[6:7]
	v_mul_f32_e32 v7, v145, v12
	v_fma_f32 v7, v144, v13, -v7
	v_cvt_f64_f32_e32 v[12:13], v7
	v_mul_f64 v[12:13], v[12:13], s[0:1]
	v_mad_u64_u32 v[0:1], s[6:7], s4, v155, v[0:1]
	v_cvt_f32_f64_e32 v7, v[12:13]
	v_add_u32_e32 v1, s2, v1
	global_store_dwordx2 v[0:1], v[6:7], off
	v_mul_f32_e32 v6, v147, v3
	v_fmac_f32_e32 v6, v146, v2
	v_mul_f32_e32 v2, v147, v2
	v_fma_f32 v2, v146, v3, -v2
	v_cvt_f64_f32_e32 v[6:7], v6
	v_cvt_f64_f32_e32 v[2:3], v2
	v_mul_f64 v[6:7], v[6:7], s[0:1]
	v_mul_f64 v[2:3], v[2:3], s[0:1]
	v_cvt_f32_f64_e32 v6, v[6:7]
	v_cvt_f32_f64_e32 v7, v[2:3]
	v_mad_u64_u32 v[12:13], s[6:7], s4, v183, v[0:1]
	ds_read2_b64 v[0:3], v165 offset0:12 offset1:255
	s_mul_i32 s3, s5, 0xffffac78
	s_sub_i32 s3, s3, s4
	v_add_u32_e32 v13, s3, v13
	global_store_dwordx2 v[12:13], v[6:7], off
	s_waitcnt lgkmcnt(0)
	v_mul_f32_e32 v6, v137, v1
	v_fmac_f32_e32 v6, v136, v0
	v_mul_f32_e32 v0, v137, v0
	v_fma_f32 v0, v136, v1, -v0
	v_cvt_f64_f32_e32 v[6:7], v6
	v_cvt_f64_f32_e32 v[0:1], v0
	v_mul_f64 v[6:7], v[6:7], s[0:1]
	v_mul_f64 v[0:1], v[0:1], s[0:1]
	v_cvt_f32_f64_e32 v6, v[6:7]
	v_cvt_f32_f64_e32 v7, v[0:1]
	v_mad_u64_u32 v[0:1], s[6:7], s4, v155, v[12:13]
	v_add_u32_e32 v1, s2, v1
	global_store_dwordx2 v[0:1], v[6:7], off
	v_mul_f32_e32 v6, v139, v9
	v_fmac_f32_e32 v6, v138, v8
	v_cvt_f64_f32_e32 v[6:7], v6
	v_mul_f64 v[6:7], v[6:7], s[0:1]
	v_cvt_f32_f64_e32 v12, v[6:7]
	v_mul_f32_e32 v6, v139, v8
	v_fma_f32 v6, v138, v9, -v6
	v_cvt_f64_f32_e32 v[6:7], v6
	v_mul_f64 v[6:7], v[6:7], s[0:1]
	v_cvt_f32_f64_e32 v13, v[6:7]
	ds_read2_b64 v[6:9], v163 offset0:6 offset1:249
	v_mad_u64_u32 v[0:1], s[6:7], s4, v155, v[0:1]
	v_add_u32_e32 v1, s2, v1
	global_store_dwordx2 v[0:1], v[12:13], off
	s_waitcnt lgkmcnt(0)
	v_mul_f32_e32 v12, v129, v7
	v_fmac_f32_e32 v12, v128, v6
	v_mul_f32_e32 v6, v129, v6
	v_fma_f32 v6, v128, v7, -v6
	v_cvt_f64_f32_e32 v[12:13], v12
	v_cvt_f64_f32_e32 v[6:7], v6
	v_mul_f64 v[12:13], v[12:13], s[0:1]
	v_mul_f64 v[6:7], v[6:7], s[0:1]
	v_cvt_f32_f64_e32 v12, v[12:13]
	v_cvt_f32_f64_e32 v13, v[6:7]
	v_mul_f32_e32 v6, v131, v15
	v_fmac_f32_e32 v6, v130, v14
	v_cvt_f64_f32_e32 v[6:7], v6
	v_mul_f64 v[6:7], v[6:7], s[0:1]
	v_mad_u64_u32 v[0:1], s[6:7], s4, v155, v[0:1]
	v_cvt_f32_f64_e32 v6, v[6:7]
	v_mul_f32_e32 v7, v131, v14
	v_add_u32_e32 v1, s2, v1
	v_fma_f32 v7, v130, v15, -v7
	global_store_dwordx2 v[0:1], v[12:13], off
	v_cvt_f64_f32_e32 v[12:13], v7
	v_mul_f64 v[12:13], v[12:13], s[0:1]
	v_mad_u64_u32 v[0:1], s[6:7], s4, v155, v[0:1]
	v_cvt_f32_f64_e32 v7, v[12:13]
	v_add_u32_e32 v1, s2, v1
	global_store_dwordx2 v[0:1], v[6:7], off
	v_mul_f32_e32 v6, v127, v5
	v_fmac_f32_e32 v6, v126, v4
	v_mul_f32_e32 v4, v127, v4
	v_fma_f32 v4, v126, v5, -v4
	v_cvt_f64_f32_e32 v[6:7], v6
	v_cvt_f64_f32_e32 v[4:5], v4
	v_mul_f64 v[6:7], v[6:7], s[0:1]
	v_mul_f64 v[4:5], v[4:5], s[0:1]
	v_cvt_f32_f64_e32 v6, v[6:7]
	v_cvt_f32_f64_e32 v7, v[4:5]
	v_mul_f32_e32 v4, v161, v3
	v_fmac_f32_e32 v4, v160, v2
	v_mul_f32_e32 v2, v161, v2
	v_fma_f32 v2, v160, v3, -v2
	v_cvt_f64_f32_e32 v[4:5], v4
	v_cvt_f64_f32_e32 v[2:3], v2
	v_mul_f64 v[4:5], v[4:5], s[0:1]
	v_mul_f64 v[2:3], v[2:3], s[0:1]
	v_cvt_f32_f64_e32 v4, v[4:5]
	v_cvt_f32_f64_e32 v5, v[2:3]
	v_mul_f32_e32 v2, v151, v11
	v_fmac_f32_e32 v2, v150, v10
	v_mad_u64_u32 v[0:1], s[6:7], s4, v183, v[0:1]
	v_cvt_f64_f32_e32 v[2:3], v2
	v_add_u32_e32 v1, s3, v1
	v_mul_f64 v[2:3], v[2:3], s[0:1]
	global_store_dwordx2 v[0:1], v[6:7], off
	v_mad_u64_u32 v[0:1], s[6:7], s4, v155, v[0:1]
	v_cvt_f32_f64_e32 v2, v[2:3]
	v_mul_f32_e32 v3, v151, v10
	v_add_u32_e32 v1, s2, v1
	v_fma_f32 v3, v150, v11, -v3
	global_store_dwordx2 v[0:1], v[4:5], off
	v_cvt_f64_f32_e32 v[4:5], v3
	v_mul_f64 v[4:5], v[4:5], s[0:1]
	v_mad_u64_u32 v[0:1], s[6:7], s4, v155, v[0:1]
	v_cvt_f32_f64_e32 v3, v[4:5]
	v_add_u32_e32 v1, s2, v1
	global_store_dwordx2 v[0:1], v[2:3], off
	v_mul_f32_e32 v2, v141, v9
	v_fmac_f32_e32 v2, v140, v8
	v_cvt_f64_f32_e32 v[2:3], v2
	v_mul_f64 v[2:3], v[2:3], s[0:1]
	v_cvt_f32_f64_e32 v2, v[2:3]
	v_mul_f32_e32 v3, v141, v8
	v_fma_f32 v3, v140, v9, -v3
	v_cvt_f64_f32_e32 v[4:5], v3
	v_mul_f64 v[4:5], v[4:5], s[0:1]
	v_cvt_f32_f64_e32 v3, v[4:5]
	ds_read_b64 v[4:5], v176 offset:27216
	v_mad_u64_u32 v[0:1], s[6:7], s4, v155, v[0:1]
	v_add_u32_e32 v1, s2, v1
	global_store_dwordx2 v[0:1], v[2:3], off
	s_waitcnt lgkmcnt(0)
	v_mul_f32_e32 v2, v133, v5
	v_fmac_f32_e32 v2, v132, v4
	v_cvt_f64_f32_e32 v[2:3], v2
	v_mul_f64 v[2:3], v[2:3], s[0:1]
	v_cvt_f32_f64_e32 v2, v[2:3]
	v_mul_f32_e32 v3, v133, v4
	v_fma_f32 v3, v132, v5, -v3
	v_cvt_f64_f32_e32 v[4:5], v3
	v_mul_f64 v[4:5], v[4:5], s[0:1]
	v_mad_u64_u32 v[0:1], s[0:1], s4, v155, v[0:1]
	v_cvt_f32_f64_e32 v3, v[4:5]
	v_add_u32_e32 v1, s2, v1
	global_store_dwordx2 v[0:1], v[2:3], off
.LBB0_2:
	s_endpgm
	.section	.rodata,"a",@progbits
	.p2align	6, 0x0
	.amdhsa_kernel bluestein_single_back_len3645_dim1_sp_op_CI_CI
		.amdhsa_group_segment_fixed_size 29160
		.amdhsa_private_segment_fixed_size 0
		.amdhsa_kernarg_size 104
		.amdhsa_user_sgpr_count 2
		.amdhsa_user_sgpr_dispatch_ptr 0
		.amdhsa_user_sgpr_queue_ptr 0
		.amdhsa_user_sgpr_kernarg_segment_ptr 1
		.amdhsa_user_sgpr_dispatch_id 0
		.amdhsa_user_sgpr_kernarg_preload_length 0
		.amdhsa_user_sgpr_kernarg_preload_offset 0
		.amdhsa_user_sgpr_private_segment_size 0
		.amdhsa_uses_dynamic_stack 0
		.amdhsa_enable_private_segment 0
		.amdhsa_system_sgpr_workgroup_id_x 1
		.amdhsa_system_sgpr_workgroup_id_y 0
		.amdhsa_system_sgpr_workgroup_id_z 0
		.amdhsa_system_sgpr_workgroup_info 0
		.amdhsa_system_vgpr_workitem_id 0
		.amdhsa_next_free_vgpr 261
		.amdhsa_next_free_sgpr 18
		.amdhsa_accum_offset 256
		.amdhsa_reserve_vcc 1
		.amdhsa_float_round_mode_32 0
		.amdhsa_float_round_mode_16_64 0
		.amdhsa_float_denorm_mode_32 3
		.amdhsa_float_denorm_mode_16_64 3
		.amdhsa_dx10_clamp 1
		.amdhsa_ieee_mode 1
		.amdhsa_fp16_overflow 0
		.amdhsa_tg_split 0
		.amdhsa_exception_fp_ieee_invalid_op 0
		.amdhsa_exception_fp_denorm_src 0
		.amdhsa_exception_fp_ieee_div_zero 0
		.amdhsa_exception_fp_ieee_overflow 0
		.amdhsa_exception_fp_ieee_underflow 0
		.amdhsa_exception_fp_ieee_inexact 0
		.amdhsa_exception_int_div_zero 0
	.end_amdhsa_kernel
	.text
.Lfunc_end0:
	.size	bluestein_single_back_len3645_dim1_sp_op_CI_CI, .Lfunc_end0-bluestein_single_back_len3645_dim1_sp_op_CI_CI
                                        ; -- End function
	.section	.AMDGPU.csdata,"",@progbits
; Kernel info:
; codeLenInByte = 17696
; NumSgprs: 24
; NumVgprs: 256
; NumAgprs: 5
; TotalNumVgprs: 261
; ScratchSize: 0
; MemoryBound: 0
; FloatMode: 240
; IeeeMode: 1
; LDSByteSize: 29160 bytes/workgroup (compile time only)
; SGPRBlocks: 2
; VGPRBlocks: 32
; NumSGPRsForWavesPerEU: 24
; NumVGPRsForWavesPerEU: 261
; AccumOffset: 256
; Occupancy: 1
; WaveLimiterHint : 1
; COMPUTE_PGM_RSRC2:SCRATCH_EN: 0
; COMPUTE_PGM_RSRC2:USER_SGPR: 2
; COMPUTE_PGM_RSRC2:TRAP_HANDLER: 0
; COMPUTE_PGM_RSRC2:TGID_X_EN: 1
; COMPUTE_PGM_RSRC2:TGID_Y_EN: 0
; COMPUTE_PGM_RSRC2:TGID_Z_EN: 0
; COMPUTE_PGM_RSRC2:TIDIG_COMP_CNT: 0
; COMPUTE_PGM_RSRC3_GFX90A:ACCUM_OFFSET: 63
; COMPUTE_PGM_RSRC3_GFX90A:TG_SPLIT: 0
	.text
	.p2alignl 6, 3212836864
	.fill 256, 4, 3212836864
	.type	__hip_cuid_df5627c1c27cdd5a,@object ; @__hip_cuid_df5627c1c27cdd5a
	.section	.bss,"aw",@nobits
	.globl	__hip_cuid_df5627c1c27cdd5a
__hip_cuid_df5627c1c27cdd5a:
	.byte	0                               ; 0x0
	.size	__hip_cuid_df5627c1c27cdd5a, 1

	.ident	"AMD clang version 19.0.0git (https://github.com/RadeonOpenCompute/llvm-project roc-6.4.0 25133 c7fe45cf4b819c5991fe208aaa96edf142730f1d)"
	.section	".note.GNU-stack","",@progbits
	.addrsig
	.addrsig_sym __hip_cuid_df5627c1c27cdd5a
	.amdgpu_metadata
---
amdhsa.kernels:
  - .agpr_count:     5
    .args:
      - .actual_access:  read_only
        .address_space:  global
        .offset:         0
        .size:           8
        .value_kind:     global_buffer
      - .actual_access:  read_only
        .address_space:  global
        .offset:         8
        .size:           8
        .value_kind:     global_buffer
      - .actual_access:  read_only
        .address_space:  global
        .offset:         16
        .size:           8
        .value_kind:     global_buffer
      - .actual_access:  read_only
        .address_space:  global
        .offset:         24
        .size:           8
        .value_kind:     global_buffer
      - .actual_access:  read_only
        .address_space:  global
        .offset:         32
        .size:           8
        .value_kind:     global_buffer
      - .offset:         40
        .size:           8
        .value_kind:     by_value
      - .address_space:  global
        .offset:         48
        .size:           8
        .value_kind:     global_buffer
      - .address_space:  global
        .offset:         56
        .size:           8
        .value_kind:     global_buffer
      - .address_space:  global
        .offset:         64
        .size:           8
        .value_kind:     global_buffer
      - .address_space:  global
        .offset:         72
        .size:           8
        .value_kind:     global_buffer
      - .offset:         80
        .size:           4
        .value_kind:     by_value
      - .address_space:  global
        .offset:         88
        .size:           8
        .value_kind:     global_buffer
      - .address_space:  global
        .offset:         96
        .size:           8
        .value_kind:     global_buffer
    .group_segment_fixed_size: 29160
    .kernarg_segment_align: 8
    .kernarg_segment_size: 104
    .language:       OpenCL C
    .language_version:
      - 2
      - 0
    .max_flat_workgroup_size: 243
    .name:           bluestein_single_back_len3645_dim1_sp_op_CI_CI
    .private_segment_fixed_size: 0
    .sgpr_count:     24
    .sgpr_spill_count: 0
    .symbol:         bluestein_single_back_len3645_dim1_sp_op_CI_CI.kd
    .uniform_work_group_size: 1
    .uses_dynamic_stack: false
    .vgpr_count:     261
    .vgpr_spill_count: 0
    .wavefront_size: 64
amdhsa.target:   amdgcn-amd-amdhsa--gfx950
amdhsa.version:
  - 1
  - 2
...

	.end_amdgpu_metadata
